;; amdgpu-corpus repo=ROCm/rocFFT kind=compiled arch=gfx1030 opt=O3
	.text
	.amdgcn_target "amdgcn-amd-amdhsa--gfx1030"
	.amdhsa_code_object_version 6
	.protected	fft_rtc_back_len1960_factors_4_7_2_7_5_wgs_56_tpt_56_halfLds_dp_op_CI_CI_unitstride_sbrr_C2R_dirReg ; -- Begin function fft_rtc_back_len1960_factors_4_7_2_7_5_wgs_56_tpt_56_halfLds_dp_op_CI_CI_unitstride_sbrr_C2R_dirReg
	.globl	fft_rtc_back_len1960_factors_4_7_2_7_5_wgs_56_tpt_56_halfLds_dp_op_CI_CI_unitstride_sbrr_C2R_dirReg
	.p2align	8
	.type	fft_rtc_back_len1960_factors_4_7_2_7_5_wgs_56_tpt_56_halfLds_dp_op_CI_CI_unitstride_sbrr_C2R_dirReg,@function
fft_rtc_back_len1960_factors_4_7_2_7_5_wgs_56_tpt_56_halfLds_dp_op_CI_CI_unitstride_sbrr_C2R_dirReg: ; @fft_rtc_back_len1960_factors_4_7_2_7_5_wgs_56_tpt_56_halfLds_dp_op_CI_CI_unitstride_sbrr_C2R_dirReg
; %bb.0:
	s_clause 0x2
	s_load_dwordx4 s[12:15], s[4:5], 0x0
	s_load_dwordx4 s[8:11], s[4:5], 0x58
	;; [unrolled: 1-line block ×3, first 2 shown]
	v_mul_u32_u24_e32 v1, 0x493, v0
	v_mov_b32_e32 v3, 0
	v_add_nc_u32_sdwa v5, s6, v1 dst_sel:DWORD dst_unused:UNUSED_PAD src0_sel:DWORD src1_sel:WORD_1
	v_mov_b32_e32 v1, 0
	v_mov_b32_e32 v6, v3
	v_mov_b32_e32 v2, 0
	s_waitcnt lgkmcnt(0)
	v_cmp_lt_u64_e64 s0, s[14:15], 2
	s_and_b32 vcc_lo, exec_lo, s0
	s_cbranch_vccnz .LBB0_8
; %bb.1:
	s_load_dwordx2 s[0:1], s[4:5], 0x10
	v_mov_b32_e32 v1, 0
	v_mov_b32_e32 v2, 0
	s_add_u32 s2, s18, 8
	s_addc_u32 s3, s19, 0
	s_add_u32 s6, s16, 8
	s_addc_u32 s7, s17, 0
	v_mov_b32_e32 v147, v2
	v_mov_b32_e32 v146, v1
	s_mov_b64 s[22:23], 1
	s_waitcnt lgkmcnt(0)
	s_add_u32 s20, s0, 8
	s_addc_u32 s21, s1, 0
.LBB0_2:                                ; =>This Inner Loop Header: Depth=1
	s_load_dwordx2 s[24:25], s[20:21], 0x0
                                        ; implicit-def: $vgpr148_vgpr149
	s_mov_b32 s0, exec_lo
	s_waitcnt lgkmcnt(0)
	v_or_b32_e32 v4, s25, v6
	v_cmpx_ne_u64_e32 0, v[3:4]
	s_xor_b32 s1, exec_lo, s0
	s_cbranch_execz .LBB0_4
; %bb.3:                                ;   in Loop: Header=BB0_2 Depth=1
	v_cvt_f32_u32_e32 v4, s24
	v_cvt_f32_u32_e32 v7, s25
	s_sub_u32 s0, 0, s24
	s_subb_u32 s26, 0, s25
	v_fmac_f32_e32 v4, 0x4f800000, v7
	v_rcp_f32_e32 v4, v4
	v_mul_f32_e32 v4, 0x5f7ffffc, v4
	v_mul_f32_e32 v7, 0x2f800000, v4
	v_trunc_f32_e32 v7, v7
	v_fmac_f32_e32 v4, 0xcf800000, v7
	v_cvt_u32_f32_e32 v7, v7
	v_cvt_u32_f32_e32 v4, v4
	v_mul_lo_u32 v8, s0, v7
	v_mul_hi_u32 v9, s0, v4
	v_mul_lo_u32 v10, s26, v4
	v_add_nc_u32_e32 v8, v9, v8
	v_mul_lo_u32 v9, s0, v4
	v_add_nc_u32_e32 v8, v8, v10
	v_mul_hi_u32 v10, v4, v9
	v_mul_lo_u32 v11, v4, v8
	v_mul_hi_u32 v12, v4, v8
	v_mul_hi_u32 v13, v7, v9
	v_mul_lo_u32 v9, v7, v9
	v_mul_hi_u32 v14, v7, v8
	v_mul_lo_u32 v8, v7, v8
	v_add_co_u32 v10, vcc_lo, v10, v11
	v_add_co_ci_u32_e32 v11, vcc_lo, 0, v12, vcc_lo
	v_add_co_u32 v9, vcc_lo, v10, v9
	v_add_co_ci_u32_e32 v9, vcc_lo, v11, v13, vcc_lo
	v_add_co_ci_u32_e32 v10, vcc_lo, 0, v14, vcc_lo
	v_add_co_u32 v8, vcc_lo, v9, v8
	v_add_co_ci_u32_e32 v9, vcc_lo, 0, v10, vcc_lo
	v_add_co_u32 v4, vcc_lo, v4, v8
	v_add_co_ci_u32_e32 v7, vcc_lo, v7, v9, vcc_lo
	v_mul_hi_u32 v8, s0, v4
	v_mul_lo_u32 v10, s26, v4
	v_mul_lo_u32 v9, s0, v7
	v_add_nc_u32_e32 v8, v8, v9
	v_mul_lo_u32 v9, s0, v4
	v_add_nc_u32_e32 v8, v8, v10
	v_mul_hi_u32 v10, v4, v9
	v_mul_lo_u32 v11, v4, v8
	v_mul_hi_u32 v12, v4, v8
	v_mul_hi_u32 v13, v7, v9
	v_mul_lo_u32 v9, v7, v9
	v_mul_hi_u32 v14, v7, v8
	v_mul_lo_u32 v8, v7, v8
	v_add_co_u32 v10, vcc_lo, v10, v11
	v_add_co_ci_u32_e32 v11, vcc_lo, 0, v12, vcc_lo
	v_add_co_u32 v9, vcc_lo, v10, v9
	v_add_co_ci_u32_e32 v9, vcc_lo, v11, v13, vcc_lo
	v_add_co_ci_u32_e32 v10, vcc_lo, 0, v14, vcc_lo
	v_add_co_u32 v8, vcc_lo, v9, v8
	v_add_co_ci_u32_e32 v9, vcc_lo, 0, v10, vcc_lo
	v_add_co_u32 v4, vcc_lo, v4, v8
	v_add_co_ci_u32_e32 v11, vcc_lo, v7, v9, vcc_lo
	v_mul_hi_u32 v13, v5, v4
	v_mad_u64_u32 v[9:10], null, v6, v4, 0
	v_mad_u64_u32 v[7:8], null, v5, v11, 0
	;; [unrolled: 1-line block ×3, first 2 shown]
	v_add_co_u32 v4, vcc_lo, v13, v7
	v_add_co_ci_u32_e32 v7, vcc_lo, 0, v8, vcc_lo
	v_add_co_u32 v4, vcc_lo, v4, v9
	v_add_co_ci_u32_e32 v4, vcc_lo, v7, v10, vcc_lo
	v_add_co_ci_u32_e32 v7, vcc_lo, 0, v12, vcc_lo
	v_add_co_u32 v4, vcc_lo, v4, v11
	v_add_co_ci_u32_e32 v9, vcc_lo, 0, v7, vcc_lo
	v_mul_lo_u32 v10, s25, v4
	v_mad_u64_u32 v[7:8], null, s24, v4, 0
	v_mul_lo_u32 v11, s24, v9
	v_sub_co_u32 v7, vcc_lo, v5, v7
	v_add3_u32 v8, v8, v11, v10
	v_sub_nc_u32_e32 v10, v6, v8
	v_subrev_co_ci_u32_e64 v10, s0, s25, v10, vcc_lo
	v_add_co_u32 v11, s0, v4, 2
	v_add_co_ci_u32_e64 v12, s0, 0, v9, s0
	v_sub_co_u32 v13, s0, v7, s24
	v_sub_co_ci_u32_e32 v8, vcc_lo, v6, v8, vcc_lo
	v_subrev_co_ci_u32_e64 v10, s0, 0, v10, s0
	v_cmp_le_u32_e32 vcc_lo, s24, v13
	v_cmp_eq_u32_e64 s0, s25, v8
	v_cndmask_b32_e64 v13, 0, -1, vcc_lo
	v_cmp_le_u32_e32 vcc_lo, s25, v10
	v_cndmask_b32_e64 v14, 0, -1, vcc_lo
	v_cmp_le_u32_e32 vcc_lo, s24, v7
	;; [unrolled: 2-line block ×3, first 2 shown]
	v_cndmask_b32_e64 v15, 0, -1, vcc_lo
	v_cmp_eq_u32_e32 vcc_lo, s25, v10
	v_cndmask_b32_e64 v7, v15, v7, s0
	v_cndmask_b32_e32 v10, v14, v13, vcc_lo
	v_add_co_u32 v13, vcc_lo, v4, 1
	v_add_co_ci_u32_e32 v14, vcc_lo, 0, v9, vcc_lo
	v_cmp_ne_u32_e32 vcc_lo, 0, v10
	v_cndmask_b32_e32 v8, v14, v12, vcc_lo
	v_cndmask_b32_e32 v10, v13, v11, vcc_lo
	v_cmp_ne_u32_e32 vcc_lo, 0, v7
	v_cndmask_b32_e32 v149, v9, v8, vcc_lo
	v_cndmask_b32_e32 v148, v4, v10, vcc_lo
.LBB0_4:                                ;   in Loop: Header=BB0_2 Depth=1
	s_andn2_saveexec_b32 s0, s1
	s_cbranch_execz .LBB0_6
; %bb.5:                                ;   in Loop: Header=BB0_2 Depth=1
	v_cvt_f32_u32_e32 v4, s24
	s_sub_i32 s1, 0, s24
	v_mov_b32_e32 v149, v3
	v_rcp_iflag_f32_e32 v4, v4
	v_mul_f32_e32 v4, 0x4f7ffffe, v4
	v_cvt_u32_f32_e32 v4, v4
	v_mul_lo_u32 v7, s1, v4
	v_mul_hi_u32 v7, v4, v7
	v_add_nc_u32_e32 v4, v4, v7
	v_mul_hi_u32 v4, v5, v4
	v_mul_lo_u32 v7, v4, s24
	v_add_nc_u32_e32 v8, 1, v4
	v_sub_nc_u32_e32 v7, v5, v7
	v_subrev_nc_u32_e32 v9, s24, v7
	v_cmp_le_u32_e32 vcc_lo, s24, v7
	v_cndmask_b32_e32 v7, v7, v9, vcc_lo
	v_cndmask_b32_e32 v4, v4, v8, vcc_lo
	v_cmp_le_u32_e32 vcc_lo, s24, v7
	v_add_nc_u32_e32 v8, 1, v4
	v_cndmask_b32_e32 v148, v4, v8, vcc_lo
.LBB0_6:                                ;   in Loop: Header=BB0_2 Depth=1
	s_or_b32 exec_lo, exec_lo, s0
	v_mul_lo_u32 v4, v149, s24
	v_mul_lo_u32 v9, v148, s25
	s_load_dwordx2 s[0:1], s[6:7], 0x0
	v_mad_u64_u32 v[7:8], null, v148, s24, 0
	s_load_dwordx2 s[24:25], s[2:3], 0x0
	s_add_u32 s22, s22, 1
	s_addc_u32 s23, s23, 0
	s_add_u32 s2, s2, 8
	s_addc_u32 s3, s3, 0
	s_add_u32 s6, s6, 8
	v_add3_u32 v4, v8, v9, v4
	v_sub_co_u32 v5, vcc_lo, v5, v7
	s_addc_u32 s7, s7, 0
	s_add_u32 s20, s20, 8
	v_sub_co_ci_u32_e32 v4, vcc_lo, v6, v4, vcc_lo
	s_addc_u32 s21, s21, 0
	s_waitcnt lgkmcnt(0)
	v_mul_lo_u32 v6, s0, v4
	v_mul_lo_u32 v7, s1, v5
	v_mad_u64_u32 v[1:2], null, s0, v5, v[1:2]
	v_mul_lo_u32 v4, s24, v4
	v_mul_lo_u32 v8, s25, v5
	v_mad_u64_u32 v[146:147], null, s24, v5, v[146:147]
	v_cmp_ge_u64_e64 s0, s[22:23], s[14:15]
	v_add3_u32 v2, v7, v2, v6
	v_add3_u32 v147, v8, v147, v4
	s_and_b32 vcc_lo, exec_lo, s0
	s_cbranch_vccnz .LBB0_9
; %bb.7:                                ;   in Loop: Header=BB0_2 Depth=1
	v_mov_b32_e32 v5, v148
	v_mov_b32_e32 v6, v149
	s_branch .LBB0_2
.LBB0_8:
	v_mov_b32_e32 v147, v2
	v_mov_b32_e32 v149, v6
	;; [unrolled: 1-line block ×4, first 2 shown]
.LBB0_9:
	s_load_dwordx2 s[0:1], s[4:5], 0x28
	v_mul_hi_u32 v3, 0x4924925, v0
	s_lshl_b64 s[4:5], s[14:15], 3
                                        ; implicit-def: $vgpr144
	s_add_u32 s2, s18, s4
	s_addc_u32 s3, s19, s5
	s_waitcnt lgkmcnt(0)
	v_cmp_gt_u64_e32 vcc_lo, s[0:1], v[148:149]
	v_cmp_le_u64_e64 s0, s[0:1], v[148:149]
	s_and_saveexec_b32 s1, s0
	s_xor_b32 s0, exec_lo, s1
; %bb.10:
	v_mul_u32_u24_e32 v1, 56, v3
                                        ; implicit-def: $vgpr3
	v_sub_nc_u32_e32 v144, v0, v1
                                        ; implicit-def: $vgpr0
                                        ; implicit-def: $vgpr1_vgpr2
; %bb.11:
	s_or_saveexec_b32 s1, s0
	s_load_dwordx2 s[2:3], s[2:3], 0x0
	s_xor_b32 exec_lo, exec_lo, s1
	s_cbranch_execz .LBB0_15
; %bb.12:
	s_add_u32 s4, s16, s4
	s_addc_u32 s5, s17, s5
	v_mul_u32_u24_e32 v3, 56, v3
	s_load_dwordx2 s[4:5], s[4:5], 0x0
	v_sub_nc_u32_e32 v144, v0, v3
	v_lshlrev_b64 v[0:1], 4, v[1:2]
	v_lshlrev_b32_e32 v142, 4, v144
	v_or_b32_e32 v2, 0x1c00, v142
	s_waitcnt lgkmcnt(0)
	v_mul_lo_u32 v6, s5, v148
	v_mul_lo_u32 v7, s4, v149
	v_mad_u64_u32 v[4:5], null, s4, v148, 0
	v_add3_u32 v5, v5, v7, v6
	v_or_b32_e32 v6, 0x5400, v142
	v_lshlrev_b64 v[3:4], 4, v[4:5]
	v_or_b32_e32 v5, 0x3800, v142
	v_add_co_u32 v3, s0, s8, v3
	v_add_co_ci_u32_e64 v4, s0, s9, v4, s0
	v_add_co_u32 v0, s0, v3, v0
	v_add_co_ci_u32_e64 v1, s0, v4, v1, s0
	v_or_b32_e32 v3, 0x7000, v142
	v_add_co_u32 v110, s0, v0, v142
	v_add_co_ci_u32_e64 v111, s0, 0, v1, s0
	v_add_co_u32 v38, s0, v0, v2
	v_add_co_ci_u32_e64 v39, s0, 0, v1, s0
	;; [unrolled: 2-line block ×19, first 2 shown]
	s_clause 0x22
	global_load_dwordx4 v[2:5], v[110:111], off
	global_load_dwordx4 v[6:9], v[110:111], off offset:896
	global_load_dwordx4 v[10:13], v[10:11], off
	global_load_dwordx4 v[14:17], v[110:111], off offset:1792
	global_load_dwordx4 v[18:21], v[22:23], off offset:640
	;; [unrolled: 1-line block ×6, first 2 shown]
	global_load_dwordx4 v[38:41], v[38:39], off
	global_load_dwordx4 v[42:45], v[42:43], off offset:1920
	global_load_dwordx4 v[46:49], v[46:47], off
	global_load_dwordx4 v[50:53], v[86:87], off offset:896
	;; [unrolled: 2-line block ×3, first 2 shown]
	global_load_dwordx4 v[62:65], v[66:67], off offset:768
	global_load_dwordx4 v[66:69], v[66:67], off offset:1664
	;; [unrolled: 1-line block ×20, first 2 shown]
	v_add_nc_u32_e32 v142, 0, v142
	v_cmp_eq_u32_e64 s0, 55, v144
	s_waitcnt vmcnt(34)
	ds_write_b128 v142, v[2:5]
	s_waitcnt vmcnt(33)
	ds_write_b128 v142, v[6:9] offset:896
	s_waitcnt vmcnt(31)
	ds_write_b128 v142, v[14:17] offset:1792
	s_waitcnt vmcnt(25)
	ds_write_b128 v142, v[38:41] offset:7168
	s_waitcnt vmcnt(23)
	ds_write_b128 v142, v[46:49] offset:14336
	s_waitcnt vmcnt(21)
	ds_write_b128 v142, v[54:57] offset:21504
	ds_write_b128 v142, v[10:13] offset:28672
	ds_write_b128 v142, v[18:21] offset:2688
	;; [unrolled: 1-line block ×7, first 2 shown]
	s_waitcnt vmcnt(19)
	ds_write_b128 v142, v[62:65] offset:8960
	s_waitcnt vmcnt(18)
	ds_write_b128 v142, v[66:69] offset:9856
	;; [unrolled: 2-line block ×6, first 2 shown]
	ds_write_b128 v142, v[50:53] offset:15232
	s_waitcnt vmcnt(13)
	ds_write_b128 v142, v[86:89] offset:16128
	s_waitcnt vmcnt(12)
	;; [unrolled: 2-line block ×6, first 2 shown]
	ds_write_b128 v142, v[106:109] offset:20608
	ds_write_b128 v142, v[58:61] offset:22400
	s_waitcnt vmcnt(7)
	ds_write_b128 v142, v[110:113] offset:23296
	s_waitcnt vmcnt(6)
	;; [unrolled: 2-line block ×8, first 2 shown]
	ds_write_b128 v142, v[138:141] offset:30464
	s_and_saveexec_b32 s4, s0
	s_cbranch_execz .LBB0_14
; %bb.13:
	v_add_co_u32 v0, s0, 0x7800, v0
	v_add_co_ci_u32_e64 v1, s0, 0, v1, s0
	v_mov_b32_e32 v4, 0
	v_mov_b32_e32 v144, 55
	global_load_dwordx4 v[0:3], v[0:1], off offset:640
	s_waitcnt vmcnt(0)
	ds_write_b128 v4, v[0:3] offset:31360
.LBB0_14:
	s_or_b32 exec_lo, exec_lo, s4
.LBB0_15:
	s_or_b32 exec_lo, exec_lo, s1
	v_lshlrev_b32_e32 v0, 4, v144
	s_waitcnt lgkmcnt(0)
	s_barrier
	buffer_gl0_inv
	s_add_u32 s1, s12, 0x7a40
	v_add_nc_u32_e32 v185, 0, v0
	v_sub_nc_u32_e32 v10, 0, v0
	s_addc_u32 s4, s13, 0
	s_mov_b32 s5, exec_lo
                                        ; implicit-def: $vgpr4_vgpr5
	ds_read_b64 v[6:7], v185
	ds_read_b64 v[8:9], v10 offset:31360
	s_waitcnt lgkmcnt(0)
	v_add_f64 v[0:1], v[6:7], v[8:9]
	v_add_f64 v[2:3], v[6:7], -v[8:9]
	v_cmpx_ne_u32_e32 0, v144
	s_xor_b32 s5, exec_lo, s5
	s_cbranch_execz .LBB0_17
; %bb.16:
	v_mov_b32_e32 v145, 0
	v_add_f64 v[13:14], v[6:7], v[8:9]
	v_add_f64 v[15:16], v[6:7], -v[8:9]
	v_lshlrev_b64 v[0:1], 4, v[144:145]
	v_add_co_u32 v0, s0, s1, v0
	v_add_co_ci_u32_e64 v1, s0, s4, v1, s0
	global_load_dwordx4 v[2:5], v[0:1], off
	ds_read_b64 v[0:1], v10 offset:31368
	ds_read_b64 v[11:12], v185 offset:8
	s_waitcnt lgkmcnt(0)
	v_add_f64 v[6:7], v[0:1], v[11:12]
	v_add_f64 v[0:1], v[11:12], -v[0:1]
	s_waitcnt vmcnt(0)
	v_fma_f64 v[8:9], v[15:16], v[4:5], v[13:14]
	v_fma_f64 v[11:12], -v[15:16], v[4:5], v[13:14]
	v_fma_f64 v[13:14], v[6:7], v[4:5], -v[0:1]
	v_fma_f64 v[4:5], v[6:7], v[4:5], v[0:1]
	v_fma_f64 v[0:1], -v[6:7], v[2:3], v[8:9]
	v_fma_f64 v[6:7], v[6:7], v[2:3], v[11:12]
	v_fma_f64 v[8:9], v[15:16], v[2:3], v[13:14]
	;; [unrolled: 1-line block ×3, first 2 shown]
	v_mov_b32_e32 v4, v144
	v_mov_b32_e32 v5, v145
	ds_write_b128 v10, v[6:9] offset:31360
.LBB0_17:
	s_andn2_saveexec_b32 s0, s5
	s_cbranch_execz .LBB0_19
; %bb.18:
	v_mov_b32_e32 v8, 0
	ds_read_b128 v[4:7], v8 offset:15680
	s_waitcnt lgkmcnt(0)
	v_add_f64 v[11:12], v[4:5], v[4:5]
	v_mul_f64 v[13:14], v[6:7], -2.0
	v_mov_b32_e32 v4, 0
	v_mov_b32_e32 v5, 0
	ds_write_b128 v8, v[11:14] offset:15680
.LBB0_19:
	s_or_b32 exec_lo, exec_lo, s0
	v_lshlrev_b64 v[4:5], 4, v[4:5]
	v_or_b32_e32 v150, 0x1c0, v144
	v_mov_b32_e32 v151, 0
	v_or_b32_e32 v152, 0x380, v144
	v_add_co_u32 v4, s0, s1, v4
	v_add_co_ci_u32_e64 v5, s0, s4, v5, s0
	v_mov_b32_e32 v153, v151
	v_add_co_u32 v23, s0, 0x800, v4
	s_clause 0x1
	global_load_dwordx4 v[6:9], v[4:5], off offset:896
	global_load_dwordx4 v[11:14], v[4:5], off offset:1792
	v_add_co_ci_u32_e64 v24, s0, 0, v5, s0
	ds_write_b128 v185, v[0:3]
	global_load_dwordx4 v[15:18], v[23:24], off offset:640
	ds_read_b128 v[0:3], v185 offset:896
	ds_read_b128 v[19:22], v10 offset:30464
	global_load_dwordx4 v[23:26], v[23:24], off offset:1536
	s_waitcnt lgkmcnt(0)
	v_add_f64 v[27:28], v[0:1], v[19:20]
	v_add_f64 v[29:30], v[21:22], v[2:3]
	v_add_f64 v[31:32], v[0:1], -v[19:20]
	v_add_f64 v[0:1], v[2:3], -v[21:22]
	s_waitcnt vmcnt(3)
	v_fma_f64 v[2:3], v[31:32], v[8:9], v[27:28]
	v_fma_f64 v[19:20], v[29:30], v[8:9], v[0:1]
	v_fma_f64 v[21:22], -v[31:32], v[8:9], v[27:28]
	v_fma_f64 v[8:9], v[29:30], v[8:9], -v[0:1]
	v_add_co_u32 v27, s0, 0x1000, v4
	v_add_co_ci_u32_e64 v28, s0, 0, v5, s0
	v_fma_f64 v[0:1], -v[29:30], v[6:7], v[2:3]
	v_fma_f64 v[2:3], v[31:32], v[6:7], v[19:20]
	v_fma_f64 v[19:20], v[29:30], v[6:7], v[21:22]
	;; [unrolled: 1-line block ×3, first 2 shown]
	ds_write_b128 v185, v[0:3] offset:896
	ds_write_b128 v10, v[19:22] offset:30464
	ds_read_b128 v[0:3], v185 offset:1792
	ds_read_b128 v[6:9], v10 offset:29568
	global_load_dwordx4 v[19:22], v[27:28], off offset:384
	s_waitcnt lgkmcnt(0)
	v_add_f64 v[29:30], v[0:1], v[6:7]
	v_add_f64 v[31:32], v[8:9], v[2:3]
	v_add_f64 v[33:34], v[0:1], -v[6:7]
	v_add_f64 v[0:1], v[2:3], -v[8:9]
	s_waitcnt vmcnt(3)
	v_fma_f64 v[2:3], v[33:34], v[13:14], v[29:30]
	v_fma_f64 v[6:7], v[31:32], v[13:14], v[0:1]
	v_fma_f64 v[8:9], -v[33:34], v[13:14], v[29:30]
	v_fma_f64 v[13:14], v[31:32], v[13:14], -v[0:1]
	v_fma_f64 v[0:1], -v[31:32], v[11:12], v[2:3]
	v_fma_f64 v[2:3], v[33:34], v[11:12], v[6:7]
	v_fma_f64 v[6:7], v[31:32], v[11:12], v[8:9]
	;; [unrolled: 1-line block ×3, first 2 shown]
	ds_write_b128 v185, v[0:3] offset:1792
	ds_write_b128 v10, v[6:9] offset:29568
	ds_read_b128 v[0:3], v185 offset:2688
	ds_read_b128 v[6:9], v10 offset:28672
	global_load_dwordx4 v[11:14], v[27:28], off offset:1280
	s_waitcnt lgkmcnt(0)
	v_add_f64 v[27:28], v[0:1], v[6:7]
	v_add_f64 v[29:30], v[8:9], v[2:3]
	v_add_f64 v[31:32], v[0:1], -v[6:7]
	v_add_f64 v[0:1], v[2:3], -v[8:9]
	s_waitcnt vmcnt(3)
	v_fma_f64 v[2:3], v[31:32], v[17:18], v[27:28]
	v_fma_f64 v[6:7], v[29:30], v[17:18], v[0:1]
	v_fma_f64 v[8:9], -v[31:32], v[17:18], v[27:28]
	v_fma_f64 v[17:18], v[29:30], v[17:18], -v[0:1]
	v_add_co_u32 v27, s0, 0x1800, v4
	v_add_co_ci_u32_e64 v28, s0, 0, v5, s0
	v_fma_f64 v[0:1], -v[29:30], v[15:16], v[2:3]
	v_fma_f64 v[2:3], v[31:32], v[15:16], v[6:7]
	v_fma_f64 v[6:7], v[29:30], v[15:16], v[8:9]
	;; [unrolled: 1-line block ×3, first 2 shown]
	ds_write_b128 v185, v[0:3] offset:2688
	ds_write_b128 v10, v[6:9] offset:28672
	ds_read_b128 v[0:3], v185 offset:3584
	ds_read_b128 v[6:9], v10 offset:27776
	global_load_dwordx4 v[15:18], v[27:28], off offset:128
	s_waitcnt lgkmcnt(0)
	v_add_f64 v[29:30], v[0:1], v[6:7]
	v_add_f64 v[31:32], v[8:9], v[2:3]
	v_add_f64 v[33:34], v[0:1], -v[6:7]
	v_add_f64 v[0:1], v[2:3], -v[8:9]
	s_waitcnt vmcnt(3)
	v_fma_f64 v[2:3], v[33:34], v[25:26], v[29:30]
	v_fma_f64 v[6:7], v[31:32], v[25:26], v[0:1]
	v_fma_f64 v[8:9], -v[33:34], v[25:26], v[29:30]
	v_fma_f64 v[25:26], v[31:32], v[25:26], -v[0:1]
	v_fma_f64 v[0:1], -v[31:32], v[23:24], v[2:3]
	v_fma_f64 v[2:3], v[33:34], v[23:24], v[6:7]
	v_fma_f64 v[6:7], v[31:32], v[23:24], v[8:9]
	;; [unrolled: 1-line block ×3, first 2 shown]
	v_lshlrev_b64 v[23:24], 4, v[150:151]
	ds_write_b128 v185, v[0:3] offset:3584
	ds_write_b128 v10, v[6:9] offset:27776
	v_add_co_u32 v23, s0, s1, v23
	v_add_co_ci_u32_e64 v24, s0, s4, v24, s0
	ds_read_b128 v[0:3], v185 offset:4480
	ds_read_b128 v[6:9], v10 offset:26880
	global_load_dwordx4 v[23:26], v[23:24], off
	s_waitcnt lgkmcnt(0)
	v_add_f64 v[29:30], v[0:1], v[6:7]
	v_add_f64 v[31:32], v[8:9], v[2:3]
	v_add_f64 v[33:34], v[0:1], -v[6:7]
	v_add_f64 v[0:1], v[2:3], -v[8:9]
	s_waitcnt vmcnt(3)
	v_fma_f64 v[2:3], v[33:34], v[21:22], v[29:30]
	v_fma_f64 v[6:7], v[31:32], v[21:22], v[0:1]
	v_fma_f64 v[8:9], -v[33:34], v[21:22], v[29:30]
	v_fma_f64 v[21:22], v[31:32], v[21:22], -v[0:1]
	v_fma_f64 v[0:1], -v[31:32], v[19:20], v[2:3]
	v_fma_f64 v[2:3], v[33:34], v[19:20], v[6:7]
	v_fma_f64 v[6:7], v[31:32], v[19:20], v[8:9]
	v_fma_f64 v[8:9], v[33:34], v[19:20], v[21:22]
	ds_write_b128 v185, v[0:3] offset:4480
	ds_write_b128 v10, v[6:9] offset:26880
	ds_read_b128 v[0:3], v185 offset:5376
	ds_read_b128 v[6:9], v10 offset:25984
	global_load_dwordx4 v[19:22], v[27:28], off offset:1920
	s_waitcnt lgkmcnt(0)
	v_add_f64 v[27:28], v[0:1], v[6:7]
	v_add_f64 v[29:30], v[8:9], v[2:3]
	v_add_f64 v[31:32], v[0:1], -v[6:7]
	v_add_f64 v[0:1], v[2:3], -v[8:9]
	s_waitcnt vmcnt(3)
	v_fma_f64 v[2:3], v[31:32], v[13:14], v[27:28]
	v_fma_f64 v[6:7], v[29:30], v[13:14], v[0:1]
	v_fma_f64 v[8:9], -v[31:32], v[13:14], v[27:28]
	v_fma_f64 v[13:14], v[29:30], v[13:14], -v[0:1]
	v_add_co_u32 v27, s0, 0x2000, v4
	v_add_co_ci_u32_e64 v28, s0, 0, v5, s0
	v_fma_f64 v[0:1], -v[29:30], v[11:12], v[2:3]
	v_fma_f64 v[2:3], v[31:32], v[11:12], v[6:7]
	v_fma_f64 v[6:7], v[29:30], v[11:12], v[8:9]
	v_fma_f64 v[8:9], v[31:32], v[11:12], v[13:14]
	ds_write_b128 v185, v[0:3] offset:5376
	ds_write_b128 v10, v[6:9] offset:25984
	ds_read_b128 v[0:3], v185 offset:6272
	ds_read_b128 v[6:9], v10 offset:25088
	global_load_dwordx4 v[11:14], v[27:28], off offset:768
	s_waitcnt lgkmcnt(0)
	v_add_f64 v[29:30], v[0:1], v[6:7]
	v_add_f64 v[31:32], v[8:9], v[2:3]
	v_add_f64 v[33:34], v[0:1], -v[6:7]
	v_add_f64 v[0:1], v[2:3], -v[8:9]
	s_waitcnt vmcnt(3)
	v_fma_f64 v[2:3], v[33:34], v[17:18], v[29:30]
	v_fma_f64 v[6:7], v[31:32], v[17:18], v[0:1]
	v_fma_f64 v[8:9], -v[33:34], v[17:18], v[29:30]
	v_fma_f64 v[17:18], v[31:32], v[17:18], -v[0:1]
	v_fma_f64 v[0:1], -v[31:32], v[15:16], v[2:3]
	v_fma_f64 v[2:3], v[33:34], v[15:16], v[6:7]
	v_fma_f64 v[6:7], v[31:32], v[15:16], v[8:9]
	v_fma_f64 v[8:9], v[33:34], v[15:16], v[17:18]
	ds_write_b128 v185, v[0:3] offset:6272
	ds_write_b128 v10, v[6:9] offset:25088
	ds_read_b128 v[0:3], v185 offset:7168
	ds_read_b128 v[6:9], v10 offset:24192
	global_load_dwordx4 v[15:18], v[27:28], off offset:1664
	s_waitcnt lgkmcnt(0)
	v_add_f64 v[27:28], v[0:1], v[6:7]
	v_add_f64 v[29:30], v[8:9], v[2:3]
	v_add_f64 v[31:32], v[0:1], -v[6:7]
	v_add_f64 v[0:1], v[2:3], -v[8:9]
	s_waitcnt vmcnt(3)
	v_fma_f64 v[2:3], v[31:32], v[25:26], v[27:28]
	v_fma_f64 v[6:7], v[29:30], v[25:26], v[0:1]
	v_fma_f64 v[8:9], -v[31:32], v[25:26], v[27:28]
	v_fma_f64 v[25:26], v[29:30], v[25:26], -v[0:1]
	v_add_co_u32 v27, s0, 0x2800, v4
	v_add_co_ci_u32_e64 v28, s0, 0, v5, s0
	v_fma_f64 v[0:1], -v[29:30], v[23:24], v[2:3]
	v_fma_f64 v[2:3], v[31:32], v[23:24], v[6:7]
	v_fma_f64 v[6:7], v[29:30], v[23:24], v[8:9]
	v_fma_f64 v[8:9], v[31:32], v[23:24], v[25:26]
	ds_write_b128 v185, v[0:3] offset:7168
	ds_write_b128 v10, v[6:9] offset:24192
	ds_read_b128 v[0:3], v185 offset:8064
	ds_read_b128 v[6:9], v10 offset:23296
	global_load_dwordx4 v[23:26], v[27:28], off offset:512
	;; [unrolled: 40-line block ×3, first 2 shown]
	s_waitcnt lgkmcnt(0)
	v_add_f64 v[29:30], v[0:1], v[6:7]
	v_add_f64 v[31:32], v[8:9], v[2:3]
	v_add_f64 v[33:34], v[0:1], -v[6:7]
	v_add_f64 v[0:1], v[2:3], -v[8:9]
	s_waitcnt vmcnt(3)
	v_fma_f64 v[2:3], v[33:34], v[17:18], v[29:30]
	v_fma_f64 v[6:7], v[31:32], v[17:18], v[0:1]
	v_fma_f64 v[8:9], -v[33:34], v[17:18], v[29:30]
	v_fma_f64 v[17:18], v[31:32], v[17:18], -v[0:1]
	v_fma_f64 v[0:1], -v[31:32], v[15:16], v[2:3]
	v_fma_f64 v[2:3], v[33:34], v[15:16], v[6:7]
	v_fma_f64 v[6:7], v[31:32], v[15:16], v[8:9]
	;; [unrolled: 1-line block ×3, first 2 shown]
	ds_write_b128 v185, v[0:3] offset:9856
	ds_write_b128 v10, v[6:9] offset:21504
	ds_read_b128 v[0:3], v185 offset:10752
	ds_read_b128 v[6:9], v10 offset:20608
	global_load_dwordx4 v[15:18], v[27:28], off offset:1152
	s_waitcnt lgkmcnt(0)
	v_add_f64 v[27:28], v[0:1], v[6:7]
	v_add_f64 v[29:30], v[8:9], v[2:3]
	v_add_f64 v[31:32], v[0:1], -v[6:7]
	v_add_f64 v[0:1], v[2:3], -v[8:9]
	s_waitcnt vmcnt(3)
	v_fma_f64 v[2:3], v[31:32], v[25:26], v[27:28]
	v_fma_f64 v[6:7], v[29:30], v[25:26], v[0:1]
	v_fma_f64 v[8:9], -v[31:32], v[25:26], v[27:28]
	v_fma_f64 v[25:26], v[29:30], v[25:26], -v[0:1]
	v_fma_f64 v[0:1], -v[29:30], v[23:24], v[2:3]
	v_fma_f64 v[2:3], v[31:32], v[23:24], v[6:7]
	v_fma_f64 v[6:7], v[29:30], v[23:24], v[8:9]
	;; [unrolled: 1-line block ×3, first 2 shown]
	v_lshlrev_b64 v[23:24], 4, v[152:153]
	ds_write_b128 v185, v[0:3] offset:10752
	ds_write_b128 v10, v[6:9] offset:20608
	v_add_co_u32 v23, s0, s1, v23
	v_add_co_ci_u32_e64 v24, s0, s4, v24, s0
	ds_read_b128 v[0:3], v185 offset:11648
	ds_read_b128 v[6:9], v10 offset:19712
	v_cmp_gt_u32_e64 s0, 28, v144
	global_load_dwordx4 v[23:26], v[23:24], off
	s_waitcnt lgkmcnt(0)
	v_add_f64 v[27:28], v[0:1], v[6:7]
	v_add_f64 v[29:30], v[8:9], v[2:3]
	v_add_f64 v[31:32], v[0:1], -v[6:7]
	v_add_f64 v[0:1], v[2:3], -v[8:9]
	s_waitcnt vmcnt(3)
	v_fma_f64 v[2:3], v[31:32], v[21:22], v[27:28]
	v_fma_f64 v[6:7], v[29:30], v[21:22], v[0:1]
	v_fma_f64 v[8:9], -v[31:32], v[21:22], v[27:28]
	v_fma_f64 v[21:22], v[29:30], v[21:22], -v[0:1]
	v_fma_f64 v[0:1], -v[29:30], v[19:20], v[2:3]
	v_fma_f64 v[2:3], v[31:32], v[19:20], v[6:7]
	v_fma_f64 v[6:7], v[29:30], v[19:20], v[8:9]
	v_fma_f64 v[8:9], v[31:32], v[19:20], v[21:22]
	ds_write_b128 v185, v[0:3] offset:11648
	ds_write_b128 v10, v[6:9] offset:19712
	ds_read_b128 v[0:3], v185 offset:12544
	ds_read_b128 v[6:9], v10 offset:18816
	s_waitcnt lgkmcnt(0)
	v_add_f64 v[19:20], v[0:1], v[6:7]
	v_add_f64 v[21:22], v[8:9], v[2:3]
	v_add_f64 v[27:28], v[0:1], -v[6:7]
	v_add_f64 v[0:1], v[2:3], -v[8:9]
	s_waitcnt vmcnt(2)
	v_fma_f64 v[2:3], v[27:28], v[13:14], v[19:20]
	v_fma_f64 v[6:7], v[21:22], v[13:14], v[0:1]
	v_fma_f64 v[8:9], -v[27:28], v[13:14], v[19:20]
	v_fma_f64 v[13:14], v[21:22], v[13:14], -v[0:1]
	v_fma_f64 v[0:1], -v[21:22], v[11:12], v[2:3]
	v_fma_f64 v[2:3], v[27:28], v[11:12], v[6:7]
	v_fma_f64 v[6:7], v[21:22], v[11:12], v[8:9]
	v_fma_f64 v[8:9], v[27:28], v[11:12], v[13:14]
	ds_write_b128 v185, v[0:3] offset:12544
	ds_write_b128 v10, v[6:9] offset:18816
	ds_read_b128 v[0:3], v185 offset:13440
	ds_read_b128 v[6:9], v10 offset:17920
	;; [unrolled: 18-line block ×3, first 2 shown]
	s_waitcnt lgkmcnt(0)
	v_add_f64 v[11:12], v[0:1], v[6:7]
	v_add_f64 v[13:14], v[8:9], v[2:3]
	v_add_f64 v[15:16], v[0:1], -v[6:7]
	v_add_f64 v[0:1], v[2:3], -v[8:9]
	s_waitcnt vmcnt(0)
	v_fma_f64 v[2:3], v[15:16], v[25:26], v[11:12]
	v_fma_f64 v[6:7], v[13:14], v[25:26], v[0:1]
	v_fma_f64 v[8:9], -v[15:16], v[25:26], v[11:12]
	v_fma_f64 v[11:12], v[13:14], v[25:26], -v[0:1]
	v_fma_f64 v[0:1], -v[13:14], v[23:24], v[2:3]
	v_fma_f64 v[2:3], v[15:16], v[23:24], v[6:7]
	v_fma_f64 v[6:7], v[13:14], v[23:24], v[8:9]
	;; [unrolled: 1-line block ×3, first 2 shown]
	ds_write_b128 v185, v[0:3] offset:14336
	ds_write_b128 v10, v[6:9] offset:17024
	s_and_saveexec_b32 s4, s0
	s_cbranch_execz .LBB0_21
; %bb.20:
	v_add_co_u32 v0, s1, 0x3800, v4
	v_add_co_ci_u32_e64 v1, s1, 0, v5, s1
	global_load_dwordx4 v[0:3], v[0:1], off offset:896
	ds_read_b128 v[4:7], v185 offset:15232
	ds_read_b128 v[11:14], v10 offset:16128
	s_waitcnt lgkmcnt(0)
	v_add_f64 v[8:9], v[4:5], v[11:12]
	v_add_f64 v[15:16], v[13:14], v[6:7]
	v_add_f64 v[11:12], v[4:5], -v[11:12]
	v_add_f64 v[4:5], v[6:7], -v[13:14]
	s_waitcnt vmcnt(0)
	v_fma_f64 v[6:7], v[11:12], v[2:3], v[8:9]
	v_fma_f64 v[13:14], v[15:16], v[2:3], v[4:5]
	v_fma_f64 v[8:9], -v[11:12], v[2:3], v[8:9]
	v_fma_f64 v[17:18], v[15:16], v[2:3], -v[4:5]
	v_fma_f64 v[2:3], -v[15:16], v[0:1], v[6:7]
	v_fma_f64 v[4:5], v[11:12], v[0:1], v[13:14]
	v_fma_f64 v[6:7], v[15:16], v[0:1], v[8:9]
	;; [unrolled: 1-line block ×3, first 2 shown]
	ds_write_b128 v185, v[2:5] offset:15232
	ds_write_b128 v10, v[6:9] offset:16128
.LBB0_21:
	s_or_b32 exec_lo, exec_lo, s4
	s_waitcnt lgkmcnt(0)
	s_barrier
	buffer_gl0_inv
	s_barrier
	buffer_gl0_inv
	ds_read_b128 v[24:27], v185 offset:15680
	ds_read_b128 v[12:15], v185
	ds_read_b128 v[8:11], v185 offset:7840
	ds_read_b128 v[28:31], v185 offset:23520
	;; [unrolled: 1-line block ×8, first 2 shown]
	v_add_nc_u32_e32 v187, 56, v144
	v_add_nc_u32_e32 v145, 0x70, v144
	;; [unrolled: 1-line block ×7, first 2 shown]
	s_mov_b32 s4, exec_lo
	s_waitcnt lgkmcnt(8)
	v_add_f64 v[116:117], v[12:13], -v[24:25]
	v_add_f64 v[118:119], v[14:15], -v[26:27]
	s_waitcnt lgkmcnt(6)
	v_add_f64 v[112:113], v[8:9], -v[28:29]
	v_add_f64 v[114:115], v[10:11], -v[30:31]
	;; [unrolled: 3-line block ×3, first 2 shown]
	ds_read_b128 v[40:43], v185 offset:9632
	ds_read_b128 v[44:47], v185 offset:25312
	;; [unrolled: 1-line block ×14, first 2 shown]
	s_waitcnt lgkmcnt(15)
	v_add_f64 v[120:121], v[32:33], -v[36:37]
	v_add_f64 v[122:123], v[34:35], -v[38:39]
	s_waitcnt lgkmcnt(12)
	v_add_f64 v[136:137], v[40:41], -v[44:45]
	v_add_f64 v[138:139], v[42:43], -v[46:47]
	s_waitcnt lgkmcnt(9)
	v_add_f64 v[140:141], v[48:49], -v[56:57]
	s_waitcnt lgkmcnt(8)
	;; [unrolled: 2-line block ×3, first 2 shown]
	v_add_f64 v[161:162], v[64:65], -v[68:69]
	v_fma_f64 v[128:129], v[12:13], 2.0, -v[116:117]
	v_fma_f64 v[130:131], v[14:15], 2.0, -v[118:119]
	;; [unrolled: 1-line block ×5, first 2 shown]
	v_add_f64 v[163:164], v[66:67], -v[70:71]
	v_add_f64 v[44:45], v[116:117], v[114:115]
	v_fma_f64 v[142:143], v[32:33], 2.0, -v[120:121]
	v_fma_f64 v[153:154], v[34:35], 2.0, -v[122:123]
	v_add_f64 v[32:33], v[124:125], v[122:123]
	v_add_f64 v[34:35], v[126:127], -v[120:121]
	v_add_f64 v[46:47], v[118:119], -v[112:113]
	v_fma_f64 v[157:158], v[2:3], 2.0, -v[126:127]
	s_waitcnt lgkmcnt(4)
	v_add_f64 v[72:73], v[28:29], -v[72:73]
	v_fma_f64 v[165:166], v[40:41], 2.0, -v[136:137]
	v_fma_f64 v[167:168], v[42:43], 2.0, -v[138:139]
	v_add_f64 v[74:75], v[30:31], -v[74:75]
	ds_read_b128 v[12:15], v185 offset:12320
	ds_read_b128 v[20:23], v185 offset:13216
	ds_read_b128 v[36:39], v185 offset:28000
	ds_read_b128 v[88:91], v185 offset:28896
	ds_read_b128 v[92:95], v185 offset:5376
	ds_read_b128 v[96:99], v185 offset:6272
	ds_read_b128 v[100:103], v185 offset:21056
	ds_read_b128 v[104:107], v185 offset:21952
	ds_read_b128 v[108:111], v185 offset:14112
	ds_read_b128 v[8:11], v185 offset:15008
	v_add_f64 v[40:41], v[140:141], v[138:139]
	v_add_f64 v[0:1], v[128:129], -v[132:133]
	v_add_f64 v[132:133], v[50:51], -v[58:59]
	;; [unrolled: 1-line block ×4, first 2 shown]
	v_fma_f64 v[60:61], v[116:117], 2.0, -v[44:45]
	v_add_f64 v[116:117], v[155:156], -v[142:143]
	ds_read_b128 v[56:59], v185 offset:29792
	ds_read_b128 v[112:115], v185 offset:30688
	v_fma_f64 v[68:69], v[124:125], 2.0, -v[32:33]
	v_fma_f64 v[70:71], v[126:127], 2.0, -v[34:35]
	v_fma_f64 v[124:125], v[48:49], 2.0, -v[140:141]
	v_fma_f64 v[48:49], v[64:65], 2.0, -v[161:162]
	s_waitcnt lgkmcnt(13)
	v_add_f64 v[64:65], v[76:77], -v[80:81]
	v_fma_f64 v[62:63], v[118:119], 2.0, -v[46:47]
	v_add_f64 v[118:119], v[157:158], -v[153:154]
	s_waitcnt lgkmcnt(0)
	s_barrier
	buffer_gl0_inv
	v_fma_f64 v[80:81], v[28:29], 2.0, -v[72:73]
	v_add_f64 v[88:89], v[20:21], -v[88:89]
	v_add_f64 v[90:91], v[22:23], -v[90:91]
	v_fma_f64 v[120:121], v[128:129], 2.0, -v[0:1]
	v_fma_f64 v[126:127], v[50:51], 2.0, -v[132:133]
	;; [unrolled: 1-line block ×3, first 2 shown]
	v_add_f64 v[66:67], v[78:79], -v[82:83]
	v_fma_f64 v[122:123], v[130:131], 2.0, -v[2:3]
	v_fma_f64 v[128:129], v[52:53], 2.0, -v[134:135]
	;; [unrolled: 1-line block ×3, first 2 shown]
	v_lshl_add_u32 v52, v144, 6, 0
	v_add_f64 v[42:43], v[132:133], -v[136:137]
	v_lshl_add_u32 v136, v187, 6, 0
	ds_write_b128 v52, v[44:47] offset:48
	ds_write_b128 v136, v[32:35] offset:48
	;; [unrolled: 1-line block ×5, first 2 shown]
	v_fma_f64 v[60:61], v[76:77], 2.0, -v[64:65]
	v_add_f64 v[68:69], v[24:25], -v[84:85]
	v_add_f64 v[70:71], v[26:27], -v[86:87]
	;; [unrolled: 1-line block ×4, first 2 shown]
	v_fma_f64 v[82:83], v[30:31], 2.0, -v[74:75]
	v_add_f64 v[84:85], v[92:93], -v[100:101]
	v_add_f64 v[86:87], v[94:95], -v[102:103]
	;; [unrolled: 1-line block ×5, first 2 shown]
	v_fma_f64 v[62:63], v[78:79], 2.0, -v[66:67]
	v_add_f64 v[78:79], v[14:15], -v[38:39]
	v_add_f64 v[48:49], v[128:129], -v[48:49]
	;; [unrolled: 1-line block ×5, first 2 shown]
	ds_write_b128 v136, v[116:119] offset:32
	ds_write_b128 v52, v[120:123]
	v_add_f64 v[52:53], v[134:135], v[163:164]
	v_add_f64 v[54:55], v[159:160], -v[161:162]
	v_fma_f64 v[0:1], v[155:156], 2.0, -v[116:117]
	v_fma_f64 v[2:3], v[157:158], 2.0, -v[118:119]
	;; [unrolled: 1-line block ×8, first 2 shown]
	v_add_f64 v[24:25], v[60:61], -v[80:81]
	v_fma_f64 v[80:81], v[92:93], 2.0, -v[84:85]
	v_fma_f64 v[92:93], v[20:21], 2.0, -v[88:89]
	;; [unrolled: 1-line block ×4, first 2 shown]
	v_add_f64 v[26:27], v[62:63], -v[82:83]
	v_fma_f64 v[14:15], v[14:15], 2.0, -v[78:79]
	v_fma_f64 v[36:37], v[128:129], 2.0, -v[48:49]
	;; [unrolled: 1-line block ×10, first 2 shown]
	v_lshl_add_u32 v120, v145, 6, 0
	v_add_f64 v[20:21], v[64:65], v[74:75]
	v_add_f64 v[22:23], v[66:67], -v[72:73]
	v_lshl_add_u32 v121, v151, 6, 0
	ds_write_b128 v136, v[0:3]
	ds_write_b128 v120, v[32:35] offset:16
	ds_write_b128 v120, v[44:47] offset:32
	ds_write_b128 v120, v[28:31]
	ds_write_b128 v120, v[40:43] offset:48
	ds_write_b128 v121, v[36:39]
	v_add_f64 v[28:29], v[116:117], -v[12:13]
	v_add_f64 v[30:31], v[118:119], -v[14:15]
	v_fma_f64 v[0:1], v[60:61], 2.0, -v[24:25]
	v_add_f64 v[32:33], v[68:69], v[78:79]
	v_add_f64 v[34:35], v[70:71], -v[76:77]
	v_fma_f64 v[2:3], v[62:63], 2.0, -v[26:27]
	v_add_f64 v[40:41], v[84:85], v[90:91]
	v_add_f64 v[42:43], v[86:87], -v[88:89]
	v_add_f64 v[12:13], v[4:5], -v[16:17]
	;; [unrolled: 1-line block ×9, first 2 shown]
	ds_write_b128 v121, v[56:59] offset:16
	v_add_f64 v[56:57], v[100:101], v[106:107]
	v_add_f64 v[58:59], v[102:103], -v[104:105]
	ds_write_b128 v121, v[48:51] offset:32
	v_fma_f64 v[48:49], v[64:65], 2.0, -v[20:21]
	v_fma_f64 v[50:51], v[66:67], 2.0, -v[22:23]
	v_lshl_add_u32 v88, v186, 6, 0
	v_fma_f64 v[60:61], v[116:117], 2.0, -v[28:29]
	v_fma_f64 v[62:63], v[118:119], 2.0, -v[30:31]
	ds_write_b128 v121, v[52:55] offset:48
	v_fma_f64 v[52:53], v[68:69], 2.0, -v[32:33]
	v_fma_f64 v[54:55], v[70:71], 2.0, -v[34:35]
	;; [unrolled: 1-line block ×4, first 2 shown]
	ds_write_b128 v88, v[0:3]
	v_add_f64 v[0:1], v[12:13], v[18:19]
	v_add_f64 v[2:3], v[14:15], -v[16:17]
	v_fma_f64 v[64:65], v[80:81], 2.0, -v[36:37]
	v_fma_f64 v[66:67], v[82:83], 2.0, -v[38:39]
	v_fma_f64 v[72:73], v[96:97], 2.0, -v[44:45]
	v_fma_f64 v[74:75], v[98:99], 2.0, -v[46:47]
	v_lshl_add_u32 v80, v188, 6, 0
	v_fma_f64 v[76:77], v[100:101], 2.0, -v[56:57]
	v_fma_f64 v[78:79], v[102:103], 2.0, -v[58:59]
	ds_write_b128 v88, v[48:51] offset:16
	ds_write_b128 v88, v[24:27] offset:32
	ds_write_b128 v88, v[20:23] offset:48
	ds_write_b128 v80, v[60:63]
	v_lshl_add_u32 v20, v189, 6, 0
	v_lshl_add_u32 v21, v190, 6, 0
	ds_write_b128 v80, v[52:55] offset:16
	ds_write_b128 v80, v[28:31] offset:32
	;; [unrolled: 1-line block ×3, first 2 shown]
	ds_write_b128 v20, v[64:67]
	ds_write_b128 v20, v[68:71] offset:16
	ds_write_b128 v20, v[36:39] offset:32
	ds_write_b128 v20, v[40:43] offset:48
	ds_write_b128 v21, v[72:75]
	ds_write_b128 v21, v[76:79] offset:16
	ds_write_b128 v21, v[44:47] offset:32
	;; [unrolled: 1-line block ×3, first 2 shown]
	v_cmpx_gt_u32_e32 42, v144
	s_cbranch_execz .LBB0_23
; %bb.22:
	v_fma_f64 v[20:21], v[6:7], 2.0, -v[14:15]
	v_fma_f64 v[6:7], v[10:11], 2.0, -v[18:19]
	;; [unrolled: 1-line block ×6, first 2 shown]
	v_lshl_add_u32 v16, v150, 6, 0
	v_add_f64 v[6:7], v[20:21], -v[6:7]
	v_add_f64 v[4:5], v[18:19], -v[4:5]
	v_fma_f64 v[14:15], v[20:21], 2.0, -v[6:7]
	v_fma_f64 v[12:13], v[18:19], 2.0, -v[4:5]
	ds_write_b128 v16, v[8:11] offset:16
	ds_write_b128 v16, v[4:7] offset:32
	ds_write_b128 v16, v[12:15]
	ds_write_b128 v16, v[0:3] offset:48
.LBB0_23:
	s_or_b32 exec_lo, exec_lo, s4
	v_and_b32_e32 v191, 3, v144
	s_waitcnt lgkmcnt(0)
	s_barrier
	buffer_gl0_inv
	s_mov_b32 s24, 0xe976ee23
	v_mul_u32_u24_e32 v4, 6, v191
	s_mov_b32 s8, 0x429ad128
	s_mov_b32 s25, 0x3fe11646
	;; [unrolled: 1-line block ×4, first 2 shown]
	v_lshlrev_b32_e32 v20, 4, v4
	s_mov_b32 s5, 0xbfd5d0dc
	s_mov_b32 s7, 0x3fd5d0dc
	;; [unrolled: 1-line block ×4, first 2 shown]
	s_clause 0x5
	global_load_dwordx4 v[4:7], v20, s[12:13]
	global_load_dwordx4 v[8:11], v20, s[12:13] offset:16
	global_load_dwordx4 v[12:15], v20, s[12:13] offset:32
	;; [unrolled: 1-line block ×5, first 2 shown]
	ds_read_b128 v[36:39], v185 offset:4480
	ds_read_b128 v[56:59], v185 offset:5376
	;; [unrolled: 1-line block ×30, first 2 shown]
	s_mov_b32 s20, 0x37e14327
	s_mov_b32 s15, 0x3fac98ee
	;; [unrolled: 1-line block ×11, first 2 shown]
	s_waitcnt vmcnt(5) lgkmcnt(29)
	v_mul_f64 v[68:69], v[38:39], v[6:7]
	v_mul_f64 v[72:73], v[36:37], v[6:7]
	s_waitcnt lgkmcnt(28)
	v_mul_f64 v[76:77], v[56:57], v[6:7]
	s_waitcnt lgkmcnt(27)
	v_mul_f64 v[78:79], v[62:63], v[6:7]
	v_mul_f64 v[74:75], v[58:59], v[6:7]
	;; [unrolled: 1-line block ×3, first 2 shown]
	s_waitcnt lgkmcnt(22)
	v_mul_f64 v[100:101], v[94:95], v[6:7]
	v_mul_f64 v[122:123], v[92:93], v[6:7]
	s_waitcnt lgkmcnt(19)
	v_mul_f64 v[161:162], v[98:99], v[6:7]
	v_mul_f64 v[6:7], v[96:97], v[6:7]
	s_waitcnt vmcnt(4)
	v_mul_f64 v[163:164], v[66:67], v[10:11]
	v_mul_f64 v[165:166], v[64:65], v[10:11]
	;; [unrolled: 1-line block ×4, first 2 shown]
	s_waitcnt lgkmcnt(13)
	v_mul_f64 v[198:199], v[140:141], v[10:11]
	s_waitcnt vmcnt(3) lgkmcnt(9)
	v_mul_f64 v[200:201], v[157:158], v[14:15]
	v_fma_f64 v[70:71], v[36:37], v[4:5], v[68:69]
	v_fma_f64 v[80:81], v[38:39], v[4:5], -v[72:73]
	v_mul_f64 v[36:37], v[138:139], v[10:11]
	v_mul_f64 v[38:39], v[136:137], v[10:11]
	v_fma_f64 v[88:89], v[58:59], v[4:5], -v[76:77]
	v_mul_f64 v[76:77], v[142:143], v[10:11]
	v_fma_f64 v[78:79], v[60:61], v[4:5], v[78:79]
	s_waitcnt lgkmcnt(8)
	v_mul_f64 v[60:61], v[169:170], v[10:11]
	v_mul_f64 v[10:11], v[167:168], v[10:11]
	v_fma_f64 v[90:91], v[56:57], v[4:5], v[74:75]
	v_fma_f64 v[74:75], v[62:63], v[4:5], -v[86:87]
	v_fma_f64 v[86:87], v[92:93], v[4:5], v[100:101]
	v_fma_f64 v[122:123], v[94:95], v[4:5], -v[122:123]
	v_mul_f64 v[94:95], v[159:160], v[14:15]
	v_fma_f64 v[58:59], v[96:97], v[4:5], v[161:162]
	v_fma_f64 v[56:57], v[98:99], v[4:5], -v[6:7]
	v_mul_f64 v[4:5], v[104:105], v[14:15]
	v_mul_f64 v[6:7], v[102:103], v[14:15]
	;; [unrolled: 1-line block ×4, first 2 shown]
	v_fma_f64 v[68:69], v[64:65], v[8:9], v[163:164]
	v_fma_f64 v[72:73], v[66:67], v[8:9], -v[165:166]
	s_waitcnt lgkmcnt(7)
	v_mul_f64 v[64:65], v[173:174], v[14:15]
	v_mul_f64 v[66:67], v[171:172], v[14:15]
	v_fma_f64 v[82:83], v[82:83], v[8:9], v[183:184]
	s_waitcnt lgkmcnt(6)
	v_mul_f64 v[183:184], v[177:178], v[14:15]
	v_mul_f64 v[14:15], v[175:176], v[14:15]
	v_fma_f64 v[92:93], v[84:85], v[8:9], -v[196:197]
	v_fma_f64 v[100:101], v[136:137], v[8:9], v[36:37]
	v_fma_f64 v[98:99], v[138:139], v[8:9], -v[38:39]
	v_fma_f64 v[62:63], v[169:170], v[8:9], -v[10:11]
	s_waitcnt vmcnt(0)
	v_mul_f64 v[10:11], v[114:115], v[22:23]
	v_fma_f64 v[165:166], v[140:141], v[8:9], v[76:77]
	v_fma_f64 v[163:164], v[142:143], v[8:9], -v[198:199]
	s_waitcnt lgkmcnt(5)
	v_mul_f64 v[136:137], v[181:182], v[26:27]
	v_mul_f64 v[138:139], v[179:180], v[26:27]
	v_fma_f64 v[60:61], v[167:168], v[8:9], v[60:61]
	v_mul_f64 v[8:9], v[116:117], v[22:23]
	v_mul_f64 v[140:141], v[112:113], v[18:19]
	;; [unrolled: 1-line block ×3, first 2 shown]
	v_fma_f64 v[196:197], v[157:158], v[12:13], v[94:95]
	v_fma_f64 v[76:77], v[159:160], v[12:13], -v[200:201]
	v_mul_f64 v[159:160], v[128:129], v[26:27]
	v_fma_f64 v[94:95], v[104:105], v[12:13], -v[6:7]
	v_mul_f64 v[6:7], v[118:119], v[22:23]
	v_fma_f64 v[169:170], v[171:172], v[12:13], v[64:65]
	v_fma_f64 v[167:168], v[173:174], v[12:13], -v[66:67]
	v_fma_f64 v[64:65], v[175:176], v[12:13], v[183:184]
	v_fma_f64 v[66:67], v[177:178], v[12:13], -v[14:15]
	s_waitcnt lgkmcnt(3)
	v_mul_f64 v[171:172], v[194:195], v[22:23]
	v_mul_f64 v[173:174], v[192:193], v[22:23]
	;; [unrolled: 1-line block ×5, first 2 shown]
	v_fma_f64 v[200:201], v[116:117], v[20:21], -v[10:11]
	s_waitcnt lgkmcnt(2)
	v_mul_f64 v[116:117], v[44:45], v[22:23]
	v_mul_f64 v[36:37], v[108:109], v[18:19]
	;; [unrolled: 1-line block ×4, first 2 shown]
	v_fma_f64 v[84:85], v[102:103], v[12:13], v[4:5]
	v_mul_f64 v[4:5], v[120:121], v[22:23]
	v_fma_f64 v[104:105], v[124:125], v[12:13], v[96:97]
	v_fma_f64 v[102:103], v[126:127], v[12:13], -v[161:162]
	v_mul_f64 v[96:97], v[155:156], v[18:19]
	v_mul_f64 v[124:125], v[153:154], v[18:19]
	;; [unrolled: 1-line block ×5, first 2 shown]
	v_fma_f64 v[136:137], v[179:180], v[24:25], v[136:137]
	v_fma_f64 v[138:139], v[181:182], v[24:25], -v[138:139]
	v_mul_f64 v[179:180], v[42:43], v[18:19]
	v_mul_f64 v[18:19], v[40:41], v[18:19]
	v_fma_f64 v[181:182], v[114:115], v[20:21], v[8:9]
	v_mul_f64 v[114:115], v[46:47], v[22:23]
	v_fma_f64 v[140:141], v[110:111], v[16:17], v[140:141]
	v_fma_f64 v[142:143], v[112:113], v[16:17], -v[142:143]
	s_waitcnt lgkmcnt(1)
	v_mul_f64 v[110:111], v[50:51], v[26:27]
	v_mul_f64 v[26:27], v[48:49], v[26:27]
	v_fma_f64 v[204:205], v[130:131], v[24:25], -v[159:160]
	s_waitcnt lgkmcnt(0)
	v_mul_f64 v[112:113], v[54:55], v[22:23]
	v_mul_f64 v[22:23], v[52:53], v[22:23]
	v_fma_f64 v[208:209], v[120:121], v[20:21], -v[6:7]
	v_fma_f64 v[171:172], v[192:193], v[20:21], v[171:172]
	v_fma_f64 v[173:174], v[194:195], v[20:21], -v[173:174]
	v_fma_f64 v[192:193], v[34:35], v[16:17], -v[177:178]
	v_fma_f64 v[177:178], v[28:29], v[24:25], v[183:184]
	v_fma_f64 v[183:184], v[30:31], v[24:25], -v[198:199]
	;; [unrolled: 3-line block ×3, first 2 shown]
	v_fma_f64 v[202:203], v[128:129], v[24:25], v[157:158]
	v_fma_f64 v[206:207], v[118:119], v[20:21], v[4:5]
	;; [unrolled: 1-line block ×4, first 2 shown]
	v_fma_f64 v[216:217], v[134:135], v[24:25], -v[161:162]
	v_fma_f64 v[175:176], v[32:33], v[16:17], v[175:176]
	v_fma_f64 v[30:31], v[40:41], v[16:17], v[179:180]
	v_fma_f64 v[32:33], v[42:43], v[16:17], -v[18:19]
	v_fma_f64 v[179:180], v[44:45], v[20:21], v[114:115]
	v_fma_f64 v[40:41], v[48:49], v[24:25], v[110:111]
	v_fma_f64 v[42:43], v[50:51], v[24:25], -v[26:27]
	v_fma_f64 v[28:29], v[52:53], v[20:21], v[112:113]
	v_fma_f64 v[34:35], v[54:55], v[20:21], -v[22:23]
	v_add_f64 v[22:23], v[88:89], v[208:209]
	v_add_f64 v[161:162], v[92:93], v[204:205]
	v_fma_f64 v[212:213], v[155:156], v[16:17], -v[124:125]
	v_add_f64 v[18:19], v[70:71], v[181:182]
	v_add_f64 v[20:21], v[80:81], v[200:201]
	;; [unrolled: 1-line block ×15, first 2 shown]
	v_add_f64 v[48:49], v[68:69], -v[136:137]
	v_add_f64 v[116:117], v[86:87], v[179:180]
	v_add_f64 v[120:121], v[165:166], v[177:178]
	v_add_f64 v[72:73], v[72:73], -v[138:139]
	v_add_f64 v[76:77], v[108:109], -v[76:77]
	v_add_f64 v[132:133], v[167:168], v[192:193]
	v_add_f64 v[134:135], v[58:59], v[28:29]
	;; [unrolled: 1-line block ×4, first 2 shown]
	v_add_f64 v[94:95], v[142:143], -v[94:95]
	v_add_f64 v[142:143], v[62:63], v[42:43]
	v_add_f64 v[108:109], v[210:211], -v[104:105]
	v_add_f64 v[104:105], v[78:79], -v[171:172]
	v_add_f64 v[86:87], v[86:87], -v[179:180]
	v_add_f64 v[171:172], v[161:162], v[22:23]
	v_add_f64 v[179:180], v[130:131], v[126:127]
	;; [unrolled: 1-line block ×5, first 2 shown]
	v_add_f64 v[68:69], v[106:107], -v[196:197]
	v_add_f64 v[70:71], v[70:71], -v[181:182]
	v_add_f64 v[128:129], v[169:170], v[175:176]
	v_add_f64 v[84:85], v[140:141], -v[84:85]
	v_add_f64 v[140:141], v[64:65], v[30:31]
	;; [unrolled: 2-line block ×3, first 2 shown]
	v_add_f64 v[106:107], v[100:101], -v[214:215]
	v_add_f64 v[100:101], v[98:99], -v[216:217]
	;; [unrolled: 1-line block ×8, first 2 shown]
	v_add_f64 v[163:164], v[46:47], v[18:19]
	v_add_f64 v[165:166], v[44:45], v[20:21]
	;; [unrolled: 1-line block ×7, first 2 shown]
	v_add_f64 v[122:123], v[192:193], -v[167:168]
	v_add_f64 v[54:55], v[62:63], -v[42:43]
	;; [unrolled: 1-line block ×5, first 2 shown]
	v_add_f64 v[66:67], v[26:27], v[171:172]
	v_add_f64 v[46:47], v[132:133], v[179:180]
	ds_read_b128 v[8:11], v185
	ds_read_b128 v[12:15], v185 offset:896
	ds_read_b128 v[36:39], v185 offset:1792
	;; [unrolled: 1-line block ×3, first 2 shown]
	v_add_f64 v[80:81], v[80:81], -v[200:201]
	v_add_f64 v[82:83], v[82:83], -v[202:203]
	v_add_f64 v[90:91], v[90:91], -v[206:207]
	v_add_f64 v[92:93], v[92:93], -v[204:205]
	v_add_f64 v[173:174], v[118:119], v[52:53]
	v_add_f64 v[28:29], v[58:59], -v[28:29]
	v_add_f64 v[58:59], v[60:61], -v[40:41]
	;; [unrolled: 1-line block ×6, first 2 shown]
	v_add_f64 v[163:164], v[155:156], v[163:164]
	v_add_f64 v[165:166], v[157:158], v[165:166]
	;; [unrolled: 1-line block ×9, first 2 shown]
	v_add_f64 v[175:176], v[161:162], -v[22:23]
	v_add_f64 v[183:184], v[22:23], -v[26:27]
	s_waitcnt lgkmcnt(2)
	v_add_f64 v[22:23], v[14:15], v[66:67]
	s_waitcnt lgkmcnt(0)
	v_add_f64 v[14:15], v[194:195], v[46:47]
	v_add_f64 v[194:195], v[124:125], -v[110:111]
	v_add_f64 v[124:125], v[114:115], -v[124:125]
	;; [unrolled: 1-line block ×5, first 2 shown]
	v_add_f64 v[48:49], v[102:103], v[100:101]
	ds_read_b128 v[4:7], v185 offset:3584
	v_add_f64 v[60:61], v[112:113], v[173:174]
	v_add_f64 v[155:156], v[18:19], -v[155:156]
	v_add_f64 v[157:158], v[20:21], -v[157:158]
	;; [unrolled: 1-line block ×5, first 2 shown]
	v_add_f64 v[177:178], v[84:85], v[82:83]
	v_add_f64 v[179:180], v[94:95], v[92:93]
	v_add_f64 v[181:182], v[16:17], -v[24:25]
	v_add_f64 v[24:25], v[8:9], v[163:164]
	v_add_f64 v[26:27], v[10:11], v[165:166]
	;; [unrolled: 1-line block ×5, first 2 shown]
	v_add_f64 v[192:193], v[118:119], -v[52:53]
	v_add_f64 v[118:119], v[112:113], -v[118:119]
	;; [unrolled: 1-line block ×3, first 2 shown]
	v_add_f64 v[202:203], v[108:109], v[106:107]
	v_add_f64 v[206:207], v[120:121], -v[116:117]
	s_waitcnt lgkmcnt(0)
	v_add_f64 v[8:9], v[4:5], v[34:35]
	v_add_f64 v[10:11], v[6:7], v[32:33]
	v_add_f64 v[208:209], v[116:117], -v[128:129]
	v_add_f64 v[4:5], v[136:137], -v[134:135]
	;; [unrolled: 1-line block ×6, first 2 shown]
	v_add_f64 v[136:137], v[169:170], v[70:71]
	v_add_f64 v[70:71], v[76:77], -v[72:73]
	v_add_f64 v[72:73], v[72:73], -v[80:81]
	;; [unrolled: 1-line block ×3, first 2 shown]
	v_add_f64 v[138:139], v[171:172], v[80:81]
	v_add_f64 v[80:81], v[84:85], -v[82:83]
	v_add_f64 v[116:117], v[90:91], -v[84:85]
	v_add_f64 v[84:85], v[48:49], v[98:99]
	v_add_f64 v[48:49], v[88:89], v[78:79]
	v_add_f64 v[128:129], v[128:129], -v[120:121]
	v_add_f64 v[56:57], v[134:135], -v[140:141]
	;; [unrolled: 1-line block ×3, first 2 shown]
	v_add_f64 v[140:141], v[177:178], v[90:91]
	v_add_f64 v[90:91], v[94:95], -v[92:93]
	v_add_f64 v[92:93], v[92:93], -v[96:97]
	;; [unrolled: 1-line block ×3, first 2 shown]
	v_add_f64 v[96:97], v[179:180], v[96:97]
	v_add_f64 v[94:95], v[202:203], v[104:105]
	v_add_f64 v[179:180], v[88:89], -v[78:79]
	v_add_f64 v[202:203], v[86:87], -v[88:89]
	;; [unrolled: 1-line block ×8, first 2 shown]
	v_add_f64 v[16:17], v[36:37], v[60:61]
	v_add_f64 v[36:37], v[153:154], -v[142:143]
	v_add_f64 v[134:135], v[108:109], -v[106:107]
	;; [unrolled: 1-line block ×3, first 2 shown]
	v_add_f64 v[48:49], v[48:49], v[86:87]
	v_add_f64 v[86:87], v[122:123], v[74:75]
	v_add_f64 v[122:123], v[50:51], -v[122:123]
	v_mul_f64 v[74:75], v[110:111], s[24:25]
	v_add_f64 v[169:170], v[102:103], -v[100:101]
	v_add_f64 v[171:172], v[100:101], -v[98:99]
	;; [unrolled: 1-line block ×4, first 2 shown]
	v_fma_f64 v[64:65], v[64:65], s[26:27], v[20:21]
	v_fma_f64 v[66:67], v[66:67], s[26:27], v[22:23]
	v_mul_f64 v[52:53], v[52:53], s[20:21]
	v_fma_f64 v[46:47], v[46:47], s[26:27], v[14:15]
	v_fma_f64 v[44:45], v[44:45], s[26:27], v[12:13]
	;; [unrolled: 1-line block ×4, first 2 shown]
	s_barrier
	buffer_gl0_inv
	v_add_f64 v[50:51], v[86:87], v[50:51]
	v_mul_f64 v[86:87], v[114:115], s[8:9]
	v_fma_f64 v[222:223], v[68:69], s[4:5], v[74:75]
	v_fma_f64 v[218:219], v[114:115], s[8:9], -v[74:75]
	v_mul_f64 v[74:75], v[179:180], s[24:25]
	v_fma_f64 v[220:221], v[68:69], s[6:7], -v[86:87]
	v_mul_f64 v[68:69], v[70:71], s[24:25]
	v_mul_f64 v[70:71], v[72:73], s[8:9]
	v_fma_f64 v[86:87], v[78:79], s[8:9], -v[74:75]
	v_fma_f64 v[88:89], v[202:203], s[4:5], v[74:75]
	v_fma_f64 v[224:225], v[72:73], s[8:9], -v[68:69]
	v_fma_f64 v[226:227], v[76:77], s[6:7], -v[70:71]
	v_fma_f64 v[228:229], v[76:77], s[4:5], v[68:69]
	v_mul_f64 v[68:69], v[155:156], s[20:21]
	v_mul_f64 v[70:71], v[196:197], s[14:15]
	;; [unrolled: 1-line block ×4, first 2 shown]
	v_fma_f64 v[86:87], v[48:49], s[22:23], v[86:87]
	v_fma_f64 v[88:89], v[48:49], s[22:23], v[88:89]
	;; [unrolled: 1-line block ×3, first 2 shown]
	v_fma_f64 v[155:156], v[167:168], s[18:19], -v[70:71]
	v_fma_f64 v[167:168], v[167:168], s[16:17], -v[68:69]
	v_mul_f64 v[68:69], v[157:158], s[20:21]
	v_mul_f64 v[70:71], v[200:201], s[14:15]
	v_fma_f64 v[74:75], v[202:203], s[6:7], -v[76:77]
	v_mul_f64 v[76:77], v[214:215], s[24:25]
	v_fma_f64 v[132:133], v[198:199], s[16:17], -v[68:69]
	v_fma_f64 v[157:158], v[198:199], s[18:19], -v[70:71]
	v_fma_f64 v[130:131], v[200:201], s[14:15], v[68:69]
	v_mul_f64 v[68:69], v[80:81], s[24:25]
	v_mul_f64 v[70:71], v[82:83], s[8:9]
	;; [unrolled: 1-line block ×3, first 2 shown]
	v_fma_f64 v[74:75], v[48:49], s[22:23], v[74:75]
	v_fma_f64 v[198:199], v[82:83], s[8:9], -v[68:69]
	v_fma_f64 v[200:201], v[116:117], s[6:7], -v[70:71]
	v_fma_f64 v[230:231], v[116:117], s[4:5], v[68:69]
	v_mul_f64 v[68:69], v[90:91], s[24:25]
	v_mul_f64 v[70:71], v[92:93], s[8:9]
	v_fma_f64 v[90:91], v[216:217], s[8:9], -v[76:77]
	v_fma_f64 v[80:81], v[210:211], s[18:19], -v[80:81]
	;; [unrolled: 1-line block ×4, first 2 shown]
	v_fma_f64 v[236:237], v[120:121], s[4:5], v[68:69]
	v_mul_f64 v[68:69], v[181:182], s[20:21]
	v_mul_f64 v[70:71], v[159:160], s[14:15]
	v_fma_f64 v[92:93], v[122:123], s[4:5], v[76:77]
	v_fma_f64 v[76:77], v[122:123], s[6:7], -v[78:79]
	v_mul_f64 v[78:79], v[126:127], s[20:21]
	v_fma_f64 v[122:123], v[136:137], s[22:23], v[222:223]
	v_fma_f64 v[126:127], v[140:141], s[22:23], v[230:231]
	v_add_f64 v[80:81], v[80:81], v[46:47]
	v_fma_f64 v[90:91], v[50:51], s[22:23], v[90:91]
	v_fma_f64 v[179:180], v[96:97], s[22:23], v[234:235]
	;; [unrolled: 1-line block ×3, first 2 shown]
	v_fma_f64 v[100:101], v[173:174], s[16:17], -v[68:69]
	v_fma_f64 v[102:103], v[173:174], s[18:19], -v[70:71]
	v_fma_f64 v[98:99], v[159:160], s[14:15], v[68:69]
	v_mul_f64 v[68:69], v[183:184], s[20:21]
	v_mul_f64 v[70:71], v[161:162], s[14:15]
	v_fma_f64 v[173:174], v[138:139], s[22:23], v[224:225]
	v_fma_f64 v[82:83], v[212:213], s[14:15], v[78:79]
	v_fma_f64 v[78:79], v[210:211], s[16:17], -v[78:79]
	v_fma_f64 v[92:93], v[50:51], s[22:23], v[92:93]
	v_fma_f64 v[76:77], v[50:51], s[22:23], v[76:77]
	v_add_f64 v[202:203], v[100:101], v[64:65]
	v_fma_f64 v[106:107], v[175:176], s[16:17], -v[68:69]
	v_fma_f64 v[108:109], v[175:176], s[18:19], -v[70:71]
	v_fma_f64 v[104:105], v[161:162], s[14:15], v[68:69]
	v_mul_f64 v[68:69], v[134:135], s[24:25]
	v_mul_f64 v[70:71], v[142:143], s[8:9]
	v_fma_f64 v[134:135], v[136:137], s[22:23], v[218:219]
	v_fma_f64 v[175:176], v[138:139], s[22:23], v[226:227]
	v_add_f64 v[82:83], v[82:83], v[46:47]
	v_add_f64 v[78:79], v[78:79], v[46:47]
	v_add_f64 v[46:47], v[80:81], -v[86:87]
	v_fma_f64 v[142:143], v[142:143], s[8:9], -v[68:69]
	v_fma_f64 v[159:160], v[153:154], s[6:7], -v[70:71]
	v_fma_f64 v[153:154], v[153:154], s[4:5], v[68:69]
	v_mul_f64 v[68:69], v[169:170], s[24:25]
	v_mul_f64 v[70:71], v[171:172], s[8:9]
	v_add_f64 v[50:51], v[78:79], -v[74:75]
	v_fma_f64 v[142:143], v[94:95], s[22:23], v[142:143]
	v_fma_f64 v[159:160], v[94:95], s[22:23], v[159:160]
	;; [unrolled: 1-line block ×3, first 2 shown]
	v_fma_f64 v[161:162], v[171:172], s[8:9], -v[68:69]
	v_fma_f64 v[171:172], v[177:178], s[4:5], v[68:69]
	v_mul_f64 v[68:69], v[112:113], s[20:21]
	v_fma_f64 v[169:170], v[177:178], s[6:7], -v[70:71]
	v_mul_f64 v[70:71], v[118:119], s[14:15]
	v_fma_f64 v[177:178], v[96:97], s[22:23], v[232:233]
	v_add_f64 v[96:97], v[42:43], -v[54:55]
	v_fma_f64 v[153:154], v[84:85], s[22:23], v[161:162]
	v_fma_f64 v[112:113], v[192:193], s[16:17], -v[68:69]
	v_fma_f64 v[110:111], v[118:119], s[14:15], v[68:69]
	v_mul_f64 v[68:69], v[204:205], s[20:21]
	v_fma_f64 v[114:115], v[192:193], s[18:19], -v[70:71]
	v_mul_f64 v[70:71], v[124:125], s[14:15]
	v_add_f64 v[192:193], v[40:41], v[58:59]
	v_fma_f64 v[161:162], v[84:85], s[22:23], v[169:170]
	v_add_f64 v[204:205], v[106:107], v[66:67]
	v_fma_f64 v[84:85], v[84:85], s[22:23], v[171:172]
	v_add_f64 v[169:170], v[42:43], v[54:55]
	v_add_f64 v[171:172], v[54:55], -v[30:31]
	v_fma_f64 v[118:119], v[194:195], s[16:17], -v[68:69]
	v_fma_f64 v[116:117], v[124:125], s[14:15], v[68:69]
	v_mul_f64 v[68:69], v[208:209], s[20:21]
	v_fma_f64 v[120:121], v[194:195], s[18:19], -v[70:71]
	v_mul_f64 v[70:71], v[128:129], s[14:15]
	v_fma_f64 v[124:125], v[136:137], s[22:23], v[220:221]
	v_fma_f64 v[136:137], v[140:141], s[22:23], v[200:201]
	v_add_f64 v[194:195], v[58:59], -v[28:29]
	v_add_f64 v[200:201], v[108:109], v[66:67]
	v_add_f64 v[66:67], v[104:105], v[66:67]
	;; [unrolled: 1-line block ×3, first 2 shown]
	v_fma_f64 v[72:73], v[128:129], s[14:15], v[68:69]
	v_fma_f64 v[128:129], v[138:139], s[22:23], v[228:229]
	;; [unrolled: 1-line block ×5, first 2 shown]
	v_add_f64 v[140:141], v[40:41], -v[58:59]
	v_fma_f64 v[58:59], v[60:61], s[26:27], v[16:17]
	v_fma_f64 v[60:61], v[62:63], s[26:27], v[18:19]
	v_fma_f64 v[70:71], v[206:207], s[18:19], -v[70:71]
	v_fma_f64 v[68:69], v[206:207], s[16:17], -v[68:69]
	v_mul_f64 v[198:199], v[56:57], s[20:21]
	v_add_f64 v[206:207], v[98:99], v[64:65]
	v_add_f64 v[72:73], v[72:73], v[44:45]
	;; [unrolled: 1-line block ×7, first 2 shown]
	v_mul_f64 v[167:168], v[140:141], s[24:25]
	v_add_f64 v[140:141], v[102:103], v[64:65]
	v_add_f64 v[208:209], v[114:115], v[58:59]
	;; [unrolled: 1-line block ×5, first 2 shown]
	v_mul_f64 v[157:158], v[38:39], s[14:15]
	v_add_f64 v[130:131], v[130:131], v[163:164]
	v_mul_f64 v[163:164], v[36:37], s[14:15]
	v_mul_f64 v[196:197], v[96:97], s[24:25]
	v_add_f64 v[216:217], v[110:111], v[58:59]
	v_add_f64 v[218:219], v[116:117], v[60:61]
	v_add_f64 v[116:117], v[204:205], -v[136:137]
	v_add_f64 v[120:121], v[136:137], v[204:205]
	v_add_f64 v[108:109], v[165:166], v[200:201]
	v_add_f64 v[112:113], v[200:201], -v[165:166]
	v_add_f64 v[165:166], v[192:193], v[28:29]
	v_add_f64 v[54:55], v[62:63], -v[173:174]
	v_add_f64 v[56:57], v[134:135], v[94:95]
	v_add_f64 v[58:59], v[173:174], v[62:63]
	v_add_f64 v[60:61], v[94:95], -v[134:135]
	v_add_f64 v[62:63], v[175:176], v[155:156]
	v_add_f64 v[64:65], v[132:133], -v[124:125]
	v_add_f64 v[94:95], v[155:156], -v[175:176]
	v_add_f64 v[96:97], v[124:125], v[132:133]
	v_add_f64 v[98:99], v[128:129], v[138:139]
	v_add_f64 v[102:103], v[138:139], -v[128:129]
	v_add_f64 v[106:107], v[140:141], -v[177:178]
	v_add_f64 v[110:111], v[177:178], v[140:141]
	v_add_f64 v[132:133], v[208:209], -v[153:154]
	v_add_f64 v[134:135], v[142:143], v[210:211]
	v_add_f64 v[136:137], v[153:154], v[208:209]
	v_add_f64 v[138:139], v[210:211], -v[142:143]
	v_add_f64 v[140:141], v[161:162], v[212:213]
	v_add_f64 v[142:143], v[214:215], -v[159:160]
	v_add_f64 v[153:154], v[212:213], -v[161:162]
	v_add_f64 v[155:156], v[159:160], v[214:215]
	v_add_f64 v[159:160], v[28:29], -v[40:41]
	v_mul_f64 v[161:162], v[194:195], s[8:9]
	v_add_f64 v[100:101], v[130:131], -v[122:123]
	v_add_f64 v[104:105], v[122:123], v[130:131]
	v_add_f64 v[124:125], v[66:67], -v[126:127]
	v_add_f64 v[130:131], v[126:127], v[66:67]
	v_add_f64 v[66:67], v[30:31], -v[42:43]
	v_mul_f64 v[126:127], v[171:172], s[8:9]
	v_fma_f64 v[157:158], v[4:5], s[18:19], -v[157:158]
	v_fma_f64 v[163:164], v[6:7], s[18:19], -v[163:164]
	;; [unrolled: 1-line block ×3, first 2 shown]
	v_fma_f64 v[36:37], v[36:37], s[14:15], v[52:53]
	v_fma_f64 v[6:7], v[6:7], s[16:17], -v[52:53]
	v_fma_f64 v[38:39], v[38:39], s[14:15], v[198:199]
	v_add_f64 v[70:71], v[70:71], v[44:45]
	v_add_f64 v[40:41], v[84:85], v[216:217]
	v_fma_f64 v[4:5], v[4:5], s[16:17], -v[198:199]
	v_add_f64 v[68:69], v[68:69], v[44:45]
	v_add_f64 v[28:29], v[216:217], -v[84:85]
	v_fma_f64 v[173:174], v[194:195], s[8:9], -v[167:168]
	v_add_f64 v[122:123], v[181:182], v[206:207]
	v_add_f64 v[114:115], v[179:180], v[202:203]
	v_add_f64 v[118:119], v[202:203], -v[179:180]
	v_fma_f64 v[52:53], v[159:160], s[6:7], -v[161:162]
	v_fma_f64 v[159:160], v[159:160], s[4:5], v[167:168]
	v_add_f64 v[128:129], v[206:207], -v[181:182]
	v_add_f64 v[42:43], v[218:219], -v[183:184]
	v_add_f64 v[30:31], v[183:184], v[218:219]
	v_fma_f64 v[126:127], v[66:67], s[6:7], -v[126:127]
	v_fma_f64 v[66:67], v[66:67], s[4:5], v[196:197]
	v_add_f64 v[84:85], v[157:158], v[34:35]
	v_fma_f64 v[157:158], v[169:170], s[22:23], v[171:172]
	v_add_f64 v[163:164], v[163:164], v[32:33]
	v_add_f64 v[6:7], v[6:7], v[32:33]
	v_add_f64 v[161:162], v[38:39], v[34:35]
	v_add_f64 v[38:39], v[86:87], v[80:81]
	v_lshrrev_b32_e32 v86, 2, v144
	v_add_f64 v[171:172], v[36:37], v[32:33]
	v_add_f64 v[32:33], v[92:93], v[72:73]
	v_add_f64 v[36:37], v[70:71], -v[90:91]
	v_add_f64 v[44:45], v[90:91], v[70:71]
	v_add_f64 v[70:71], v[72:73], -v[92:93]
	v_mul_u32_u24_e32 v92, 28, v86
	v_add_f64 v[4:5], v[4:5], v[34:35]
	v_fma_f64 v[52:53], v[165:166], s[22:23], v[52:53]
	v_add_f64 v[34:35], v[82:83], -v[88:89]
	v_add_f64 v[48:49], v[76:77], v[68:69]
	v_add_f64 v[72:73], v[88:89], v[82:83]
	v_fma_f64 v[159:160], v[165:166], s[22:23], v[159:160]
	v_fma_f64 v[167:168], v[165:166], s[22:23], v[173:174]
	;; [unrolled: 1-line block ×4, first 2 shown]
	v_add_f64 v[66:67], v[68:69], -v[76:77]
	v_add_f64 v[68:69], v[74:75], v[78:79]
	v_add_f64 v[74:75], v[84:85], -v[157:158]
	v_add_f64 v[78:79], v[157:158], v[84:85]
	;; [unrolled: 2-line block ×3, first 2 shown]
	v_or_b32_e32 v52, v92, v191
	v_lshrrev_b32_e32 v53, 2, v187
	v_add_f64 v[92:93], v[171:172], -v[159:160]
	v_add_f64 v[76:77], v[167:168], v[163:164]
	v_add_f64 v[82:83], v[126:127], v[4:5]
	v_lshl_add_u32 v52, v52, 4, 0
	v_mul_u32_u24_e32 v53, 28, v53
	v_add_f64 v[90:91], v[169:170], v[161:162]
	v_add_f64 v[80:81], v[163:164], -v[167:168]
	v_add_f64 v[86:87], v[4:5], -v[126:127]
	ds_write_b128 v52, v[24:27]
	v_lshrrev_b32_e32 v25, 2, v145
	v_or_b32_e32 v24, v53, v191
	ds_write_b128 v52, v[98:101] offset:64
	ds_write_b128 v52, v[62:65] offset:128
	;; [unrolled: 1-line block ×4, first 2 shown]
	v_mul_u32_u24_e32 v25, 28, v25
	v_lshl_add_u32 v24, v24, 4, 0
	ds_write_b128 v52, v[94:97] offset:320
	ds_write_b128 v52, v[102:105] offset:384
	ds_write_b128 v24, v[20:23]
	ds_write_b128 v24, v[122:125] offset:64
	v_or_b32_e32 v20, v25, v191
	v_lshrrev_b32_e32 v21, 2, v151
	v_lshrrev_b32_e32 v22, 2, v186
	v_add_f64 v[4:5], v[161:162], -v[169:170]
	v_add_f64 v[6:7], v[159:160], v[171:172]
	v_lshl_add_u32 v20, v20, 4, 0
	v_mul_u32_u24_e32 v21, 28, v21
	ds_write_b128 v24, v[114:117] offset:128
	ds_write_b128 v24, v[106:109] offset:192
	;; [unrolled: 1-line block ×5, first 2 shown]
	ds_write_b128 v20, v[16:19]
	v_mul_u32_u24_e32 v17, 28, v22
	v_or_b32_e32 v16, v21, v191
	ds_write_b128 v20, v[40:43] offset:64
	ds_write_b128 v20, v[140:143] offset:128
	ds_write_b128 v20, v[132:135] offset:192
	ds_write_b128 v20, v[136:139] offset:256
	ds_write_b128 v20, v[153:156] offset:320
	v_or_b32_e32 v17, v17, v191
	v_lshl_add_u32 v16, v16, 4, 0
	ds_write_b128 v20, v[28:31] offset:384
	ds_write_b128 v16, v[12:15]
	ds_write_b128 v16, v[32:35] offset:64
	ds_write_b128 v16, v[48:51] offset:128
	v_lshl_add_u32 v12, v17, 4, 0
	ds_write_b128 v16, v[36:39] offset:192
	ds_write_b128 v16, v[44:47] offset:256
	;; [unrolled: 1-line block ×4, first 2 shown]
	ds_write_b128 v12, v[8:11]
	ds_write_b128 v12, v[90:93] offset:64
	ds_write_b128 v12, v[82:85] offset:128
	;; [unrolled: 1-line block ×6, first 2 shown]
	s_waitcnt lgkmcnt(0)
	s_barrier
	buffer_gl0_inv
	ds_read_b128 v[72:75], v185
	ds_read_b128 v[68:71], v185 offset:896
	ds_read_b128 v[112:115], v185 offset:16576
	;; [unrolled: 1-line block ×33, first 2 shown]
	s_and_saveexec_b32 s1, s0
	s_cbranch_execz .LBB0_25
; %bb.24:
	ds_read_b128 v[4:7], v185 offset:15232
	ds_read_b128 v[0:3], v185 offset:30912
.LBB0_25:
	s_or_b32 exec_lo, exec_lo, s1
	v_lshrrev_b16 v157, 2, v187
	v_subrev_nc_u32_e32 v153, 28, v144
	v_mov_b32_e32 v154, 0
	v_and_b32_e32 v157, 63, v157
	v_cndmask_b32_e64 v153, v153, v144, s0
	v_mul_lo_u16 v157, v157, 37
	v_lshlrev_b64 v[155:156], 4, v[153:154]
	v_lshrrev_b16 v170, 8, v157
	v_add_co_u32 v155, s1, s12, v155
	v_add_co_ci_u32_e64 v156, s1, s13, v156, s1
	v_mul_lo_u16 v157, v170, 28
	v_cmp_lt_u32_e64 s1, 27, v144
	v_sub_nc_u16 v158, v187, v157
	v_mov_b32_e32 v157, 4
	v_lshlrev_b32_sdwa v171, v157, v158 dst_sel:DWORD dst_unused:UNUSED_PAD src0_sel:DWORD src1_sel:BYTE_0
	s_clause 0x1
	global_load_dwordx4 v[158:161], v[155:156], off offset:384
	global_load_dwordx4 v[172:175], v171, s[12:13] offset:384
	s_waitcnt vmcnt(1) lgkmcnt(3)
	v_mul_f64 v[155:156], v[142:143], v[160:161]
	v_fma_f64 v[191:192], v[140:141], v[158:159], v[155:156]
	v_mul_f64 v[140:141], v[140:141], v[160:161]
	v_mov_b32_e32 v155, 0x4925
	v_fma_f64 v[193:194], v[142:143], v[158:159], -v[140:141]
	v_lshrrev_b16 v140, 2, v186
	v_lshrrev_b16 v141, 2, v188
	v_mul_u32_u24_sdwa v140, v140, v155 dst_sel:DWORD dst_unused:UNUSED_PAD src0_sel:WORD_0 src1_sel:DWORD
	v_mul_u32_u24_sdwa v141, v141, v155 dst_sel:DWORD dst_unused:UNUSED_PAD src0_sel:WORD_0 src1_sel:DWORD
	v_lshrrev_b32_e32 v167, 17, v140
	v_lshrrev_b32_e32 v161, 17, v141
	v_mul_lo_u16 v140, v167, 28
	v_mul_lo_u16 v141, v161, 28
	v_sub_nc_u16 v140, v186, v140
	v_sub_nc_u16 v141, v188, v141
	v_lshlrev_b32_sdwa v169, v157, v140 dst_sel:DWORD dst_unused:UNUSED_PAD src0_sel:DWORD src1_sel:WORD_0
	v_lshlrev_b32_sdwa v162, v157, v141 dst_sel:DWORD dst_unused:UNUSED_PAD src0_sel:DWORD src1_sel:WORD_0
	s_clause 0x1
	global_load_dwordx4 v[163:166], v169, s[12:13] offset:384
	global_load_dwordx4 v[176:179], v162, s[12:13] offset:384
	s_waitcnt vmcnt(1)
	v_mul_f64 v[140:141], v[138:139], v[165:166]
	v_fma_f64 v[140:141], v[136:137], v[163:164], v[140:141]
	v_mul_f64 v[136:137], v[136:137], v[165:166]
	v_fma_f64 v[142:143], v[138:139], v[163:164], -v[136:137]
	s_waitcnt vmcnt(0)
	v_mul_f64 v[136:137], v[134:135], v[178:179]
	v_fma_f64 v[136:137], v[132:133], v[176:177], v[136:137]
	v_mul_f64 v[132:133], v[132:133], v[178:179]
	v_fma_f64 v[134:135], v[134:135], v[176:177], -v[132:133]
	v_lshrrev_b16 v133, 2, v189
	v_lshrrev_b16 v132, 2, v190
	v_mul_u32_u24_sdwa v133, v133, v155 dst_sel:DWORD dst_unused:UNUSED_PAD src0_sel:WORD_0 src1_sel:DWORD
	v_mul_u32_u24_sdwa v132, v132, v155 dst_sel:DWORD dst_unused:UNUSED_PAD src0_sel:WORD_0 src1_sel:DWORD
	v_lshrrev_b32_e32 v163, 17, v133
	v_lshrrev_b32_e32 v158, 17, v132
	v_mul_lo_u16 v133, v163, 28
	v_mul_lo_u16 v132, v158, 28
	v_sub_nc_u16 v133, v189, v133
	v_sub_nc_u16 v132, v190, v132
	v_lshlrev_b32_sdwa v164, v157, v133 dst_sel:DWORD dst_unused:UNUSED_PAD src0_sel:DWORD src1_sel:WORD_0
	v_lshlrev_b32_sdwa v160, v157, v132 dst_sel:DWORD dst_unused:UNUSED_PAD src0_sel:DWORD src1_sel:WORD_0
	s_clause 0x1
	global_load_dwordx4 v[176:179], v164, s[12:13] offset:384
	global_load_dwordx4 v[180:183], v160, s[12:13] offset:384
	s_waitcnt vmcnt(1)
	v_mul_f64 v[132:133], v[130:131], v[178:179]
	v_fma_f64 v[132:133], v[128:129], v[176:177], v[132:133]
	v_mul_f64 v[128:129], v[128:129], v[178:179]
	v_fma_f64 v[130:131], v[130:131], v[176:177], -v[128:129]
	s_waitcnt vmcnt(0)
	v_mul_f64 v[128:129], v[126:127], v[182:183]
	v_fma_f64 v[128:129], v[124:125], v[180:181], v[128:129]
	v_mul_f64 v[124:125], v[124:125], v[182:183]
	v_fma_f64 v[124:125], v[126:127], v[180:181], -v[124:125]
	v_add_nc_u16 v127, v144, 0x1f8
	v_lshrrev_b16 v126, 2, v150
	v_lshrrev_b16 v138, 2, v127
	v_mul_u32_u24_sdwa v126, v126, v155 dst_sel:DWORD dst_unused:UNUSED_PAD src0_sel:WORD_0 src1_sel:DWORD
	v_mul_u32_u24_sdwa v138, v138, v155 dst_sel:DWORD dst_unused:UNUSED_PAD src0_sel:WORD_0 src1_sel:DWORD
	v_lshrrev_b32_e32 v159, 17, v126
	v_lshrrev_b32_e32 v165, 17, v138
	v_mul_lo_u16 v126, v159, 28
	v_mul_lo_u16 v138, v165, 28
	v_sub_nc_u16 v126, v150, v126
	v_sub_nc_u16 v127, v127, v138
	v_lshlrev_b32_sdwa v168, v157, v126 dst_sel:DWORD dst_unused:UNUSED_PAD src0_sel:DWORD src1_sel:WORD_0
	v_lshlrev_b32_sdwa v166, v157, v127 dst_sel:DWORD dst_unused:UNUSED_PAD src0_sel:DWORD src1_sel:WORD_0
	s_clause 0x1
	global_load_dwordx4 v[176:179], v168, s[12:13] offset:384
	global_load_dwordx4 v[180:183], v166, s[12:13] offset:384
	s_waitcnt vmcnt(1)
	v_mul_f64 v[126:127], v[118:119], v[178:179]
	v_fma_f64 v[126:127], v[116:117], v[176:177], v[126:127]
	v_mul_f64 v[116:117], v[116:117], v[178:179]
	v_fma_f64 v[138:139], v[118:119], v[176:177], -v[116:117]
	v_lshrrev_b16 v116, 2, v152
	v_mul_u32_u24_sdwa v116, v116, v155 dst_sel:DWORD dst_unused:UNUSED_PAD src0_sel:WORD_0 src1_sel:DWORD
	v_lshrrev_b32_e32 v156, 17, v116
	v_mul_lo_u16 v116, v156, 28
	v_sub_nc_u16 v116, v152, v116
	v_lshlrev_b32_sdwa v150, v157, v116 dst_sel:DWORD dst_unused:UNUSED_PAD src0_sel:DWORD src1_sel:WORD_0
	global_load_dwordx4 v[176:179], v150, s[12:13] offset:384
	s_waitcnt vmcnt(0) lgkmcnt(0)
	v_mul_f64 v[116:117], v[122:123], v[178:179]
	v_mul_f64 v[118:119], v[120:121], v[178:179]
	v_fma_f64 v[116:117], v[120:121], v[176:177], v[116:117]
	v_mul_f64 v[120:121], v[114:115], v[174:175]
	v_fma_f64 v[118:119], v[122:123], v[176:177], -v[118:119]
	v_fma_f64 v[195:196], v[112:113], v[172:173], v[120:121]
	v_mul_f64 v[112:113], v[112:113], v[174:175]
	v_fma_f64 v[197:198], v[114:115], v[172:173], -v[112:113]
	v_lshrrev_b16 v112, 2, v145
	v_lshrrev_b16 v113, 2, v151
	v_and_b32_e32 v112, 63, v112
	v_and_b32_e32 v113, 63, v113
	v_mul_lo_u16 v112, v112, 37
	v_mul_lo_u16 v113, v113, 37
	v_lshrrev_b16 v152, 8, v112
	v_lshrrev_b16 v184, 8, v113
	v_mul_lo_u16 v112, v152, 28
	v_mul_lo_u16 v113, v184, 28
	v_sub_nc_u16 v112, v145, v112
	v_sub_nc_u16 v113, v151, v113
	v_lshlrev_b32_sdwa v190, v157, v112 dst_sel:DWORD dst_unused:UNUSED_PAD src0_sel:DWORD src1_sel:BYTE_0
	v_lshlrev_b32_sdwa v205, v157, v113 dst_sel:DWORD dst_unused:UNUSED_PAD src0_sel:DWORD src1_sel:BYTE_0
	s_clause 0x1
	global_load_dwordx4 v[112:115], v190, s[12:13] offset:384
	global_load_dwordx4 v[120:123], v205, s[12:13] offset:384
	s_waitcnt vmcnt(1)
	v_mul_f64 v[172:173], v[106:107], v[114:115]
	v_fma_f64 v[199:200], v[104:105], v[112:113], v[172:173]
	v_mul_f64 v[104:105], v[104:105], v[114:115]
	v_fma_f64 v[201:202], v[106:107], v[112:113], -v[104:105]
	s_waitcnt vmcnt(0)
	v_mul_f64 v[104:105], v[102:103], v[122:123]
	v_fma_f64 v[203:204], v[100:101], v[120:121], v[104:105]
	v_add_nc_u16 v104, v144, 0x230
	v_mul_f64 v[100:101], v[100:101], v[122:123]
	v_lshrrev_b16 v105, 2, v104
	v_mul_u32_u24_sdwa v105, v105, v155 dst_sel:DWORD dst_unused:UNUSED_PAD src0_sel:WORD_0 src1_sel:DWORD
	v_lshrrev_b32_e32 v113, 17, v105
	v_mul_lo_u16 v105, v113, 28
	v_fma_f64 v[122:123], v[102:103], v[120:121], -v[100:101]
	v_mul_f64 v[100:101], v[110:111], v[182:183]
	v_sub_nc_u16 v104, v104, v105
	v_add_nc_u16 v105, v144, 0x268
	v_mul_f64 v[102:103], v[108:109], v[182:183]
	v_lshlrev_b32_sdwa v121, v157, v104 dst_sel:DWORD dst_unused:UNUSED_PAD src0_sel:DWORD src1_sel:WORD_0
	v_lshrrev_b16 v106, 2, v105
	v_mul_u32_u24_sdwa v106, v106, v155 dst_sel:DWORD dst_unused:UNUSED_PAD src0_sel:WORD_0 src1_sel:DWORD
	v_lshrrev_b32_e32 v114, 17, v106
	v_mul_lo_u16 v106, v114, 28
	v_fma_f64 v[100:101], v[108:109], v[180:181], v[100:101]
	v_fma_f64 v[102:103], v[110:111], v[180:181], -v[102:103]
	v_sub_nc_u16 v105, v105, v106
	v_lshlrev_b32_sdwa v120, v157, v105 dst_sel:DWORD dst_unused:UNUSED_PAD src0_sel:DWORD src1_sel:WORD_0
	s_clause 0x1
	global_load_dwordx4 v[106:109], v121, s[12:13] offset:384
	global_load_dwordx4 v[172:175], v120, s[12:13] offset:384
	s_waitcnt vmcnt(1)
	v_mul_f64 v[104:105], v[98:99], v[108:109]
	v_fma_f64 v[104:105], v[96:97], v[106:107], v[104:105]
	v_mul_f64 v[96:97], v[96:97], v[108:109]
	v_fma_f64 v[98:99], v[98:99], v[106:107], -v[96:97]
	s_waitcnt vmcnt(0)
	v_mul_f64 v[96:97], v[94:95], v[174:175]
	v_fma_f64 v[96:97], v[92:93], v[172:173], v[96:97]
	v_mul_f64 v[92:93], v[92:93], v[174:175]
	v_fma_f64 v[92:93], v[94:95], v[172:173], -v[92:93]
	v_add_nc_u16 v94, v144, 0x2a0
	v_lshrrev_b16 v95, 2, v94
	v_mul_u32_u24_sdwa v95, v95, v155 dst_sel:DWORD dst_unused:UNUSED_PAD src0_sel:WORD_0 src1_sel:DWORD
	v_lshrrev_b32_e32 v112, 17, v95
	v_mul_lo_u16 v95, v112, 28
	v_sub_nc_u16 v94, v94, v95
	v_add_nc_u16 v95, v144, 0x2d8
	v_lshlrev_b32_sdwa v115, v157, v94 dst_sel:DWORD dst_unused:UNUSED_PAD src0_sel:DWORD src1_sel:WORD_0
	v_lshrrev_b16 v106, 2, v95
	v_mul_u32_u24_sdwa v106, v106, v155 dst_sel:DWORD dst_unused:UNUSED_PAD src0_sel:WORD_0 src1_sel:DWORD
	v_lshrrev_b32_e32 v107, 17, v106
	v_mul_lo_u16 v106, v107, 28
	v_sub_nc_u16 v95, v95, v106
	v_lshlrev_b32_sdwa v106, v157, v95 dst_sel:DWORD dst_unused:UNUSED_PAD src0_sel:DWORD src1_sel:WORD_0
	s_clause 0x1
	global_load_dwordx4 v[108:111], v115, s[12:13] offset:384
	global_load_dwordx4 v[172:175], v106, s[12:13] offset:384
	s_waitcnt vmcnt(1)
	v_mul_f64 v[94:95], v[90:91], v[110:111]
	v_fma_f64 v[94:95], v[88:89], v[108:109], v[94:95]
	v_mul_f64 v[88:89], v[88:89], v[110:111]
	v_fma_f64 v[90:91], v[90:91], v[108:109], -v[88:89]
	s_waitcnt vmcnt(0)
	v_mul_f64 v[88:89], v[86:87], v[174:175]
	v_fma_f64 v[88:89], v[84:85], v[172:173], v[88:89]
	v_mul_f64 v[84:85], v[84:85], v[174:175]
	v_fma_f64 v[84:85], v[86:87], v[172:173], -v[84:85]
	v_add_nc_u16 v86, v144, 0x310
	v_lshrrev_b16 v87, 2, v86
	v_mul_u32_u24_sdwa v87, v87, v155 dst_sel:DWORD dst_unused:UNUSED_PAD src0_sel:WORD_0 src1_sel:DWORD
	v_lshrrev_b32_e32 v111, 17, v87
	v_mul_lo_u16 v87, v111, 28
	v_sub_nc_u16 v86, v86, v87
	v_add_nc_u16 v87, v144, 0x348
	v_lshlrev_b32_sdwa v109, v157, v86 dst_sel:DWORD dst_unused:UNUSED_PAD src0_sel:DWORD src1_sel:WORD_0
	v_lshrrev_b16 v108, 2, v87
	v_mul_u32_u24_sdwa v108, v108, v155 dst_sel:DWORD dst_unused:UNUSED_PAD src0_sel:WORD_0 src1_sel:DWORD
	v_lshrrev_b32_e32 v110, 17, v108
	v_mul_lo_u16 v108, v110, 28
	v_sub_nc_u16 v87, v87, v108
	v_lshlrev_b32_sdwa v108, v157, v87 dst_sel:DWORD dst_unused:UNUSED_PAD src0_sel:DWORD src1_sel:WORD_0
	s_clause 0x1
	global_load_dwordx4 v[172:175], v109, s[12:13] offset:384
	global_load_dwordx4 v[176:179], v108, s[12:13] offset:384
	s_waitcnt vmcnt(0)
	s_barrier
	buffer_gl0_inv
	v_mul_f64 v[86:87], v[78:79], v[174:175]
	v_fma_f64 v[86:87], v[76:77], v[172:173], v[86:87]
	v_mul_f64 v[76:77], v[76:77], v[174:175]
	v_add_f64 v[174:175], v[74:75], -v[193:194]
	v_fma_f64 v[78:79], v[78:79], v[172:173], -v[76:77]
	v_mul_f64 v[76:77], v[82:83], v[178:179]
	v_add_f64 v[172:173], v[72:73], -v[191:192]
	v_fma_f64 v[74:75], v[74:75], 2.0, -v[174:175]
	v_fma_f64 v[76:77], v[80:81], v[176:177], v[76:77]
	v_mul_f64 v[80:81], v[80:81], v[178:179]
	v_fma_f64 v[72:73], v[72:73], 2.0, -v[172:173]
	v_fma_f64 v[80:81], v[82:83], v[176:177], -v[80:81]
	v_cndmask_b32_e64 v82, 0, 0x380, s1
	v_lshlrev_b32_e32 v83, 4, v153
	v_lshlrev_b32_e32 v153, 2, v189
	v_add3_u32 v82, 0, v82, v83
	ds_write_b128 v82, v[172:175] offset:448
	ds_write_b128 v82, v[72:75]
	v_add_f64 v[72:73], v[68:69], -v[195:196]
	v_add_f64 v[74:75], v[70:71], -v[197:198]
	v_mov_b32_e32 v82, 0x380
	v_mul_u32_u24_sdwa v83, v170, v82 dst_sel:DWORD dst_unused:UNUSED_PAD src0_sel:WORD_0 src1_sel:DWORD
	v_add3_u32 v83, 0, v83, v171
	v_fma_f64 v[68:69], v[68:69], 2.0, -v[72:73]
	v_fma_f64 v[70:71], v[70:71], 2.0, -v[74:75]
	ds_write_b128 v83, v[72:75] offset:448
	ds_write_b128 v83, v[68:71]
	v_add_f64 v[68:69], v[64:65], -v[199:200]
	v_add_f64 v[70:71], v[66:67], -v[201:202]
	v_mul_u32_u24_sdwa v72, v152, v82 dst_sel:DWORD dst_unused:UNUSED_PAD src0_sel:WORD_0 src1_sel:DWORD
	v_add3_u32 v72, 0, v72, v190
	v_fma_f64 v[64:65], v[64:65], 2.0, -v[68:69]
	v_fma_f64 v[66:67], v[66:67], 2.0, -v[70:71]
	ds_write_b128 v72, v[64:67]
	ds_write_b128 v72, v[68:71] offset:448
	v_add_f64 v[64:65], v[60:61], -v[203:204]
	v_add_f64 v[66:67], v[62:63], -v[122:123]
	v_mul_u32_u24_sdwa v68, v184, v82 dst_sel:DWORD dst_unused:UNUSED_PAD src0_sel:WORD_0 src1_sel:DWORD
	v_add3_u32 v68, 0, v68, v205
	v_fma_f64 v[60:61], v[60:61], 2.0, -v[64:65]
	v_fma_f64 v[62:63], v[62:63], 2.0, -v[66:67]
	ds_write_b128 v68, v[60:63]
	ds_write_b128 v68, v[64:67] offset:448
	v_add_f64 v[60:61], v[56:57], -v[140:141]
	v_add_f64 v[62:63], v[58:59], -v[142:143]
	v_mul_u32_u24_e32 v64, 0x380, v167
	v_add3_u32 v64, 0, v64, v169
	v_fma_f64 v[56:57], v[56:57], 2.0, -v[60:61]
	v_fma_f64 v[58:59], v[58:59], 2.0, -v[62:63]
	ds_write_b128 v64, v[56:59]
	ds_write_b128 v64, v[60:63] offset:448
	v_add_f64 v[56:57], v[52:53], -v[136:137]
	v_add_f64 v[58:59], v[54:55], -v[134:135]
	v_mul_u32_u24_e32 v60, 0x380, v161
	;; [unrolled: 8-line block ×5, first 2 shown]
	v_add_f64 v[50:51], v[10:11], -v[80:81]
	v_add3_u32 v48, 0, v48, v168
	v_fma_f64 v[40:41], v[40:41], 2.0, -v[44:45]
	v_fma_f64 v[42:43], v[42:43], 2.0, -v[46:47]
	ds_write_b128 v48, v[40:43]
	ds_write_b128 v48, v[44:47] offset:448
	v_add_f64 v[40:41], v[36:37], -v[100:101]
	v_add_f64 v[42:43], v[38:39], -v[102:103]
	v_mul_u32_u24_e32 v44, 0x380, v165
	v_add_f64 v[46:47], v[18:19], -v[78:79]
	v_add_f64 v[48:49], v[8:9], -v[76:77]
	v_fma_f64 v[10:11], v[10:11], 2.0, -v[50:51]
	v_add3_u32 v44, 0, v44, v166
	v_fma_f64 v[36:37], v[36:37], 2.0, -v[40:41]
	v_fma_f64 v[38:39], v[38:39], 2.0, -v[42:43]
	ds_write_b128 v44, v[36:39]
	ds_write_b128 v44, v[40:43] offset:448
	v_add_f64 v[36:37], v[32:33], -v[104:105]
	v_add_f64 v[38:39], v[34:35], -v[98:99]
	v_mul_u32_u24_e32 v40, 0x380, v113
	v_add_f64 v[42:43], v[14:15], -v[84:85]
	v_add_f64 v[44:45], v[16:17], -v[86:87]
	v_fma_f64 v[18:19], v[18:19], 2.0, -v[46:47]
	v_fma_f64 v[8:9], v[8:9], 2.0, -v[48:49]
	v_add3_u32 v40, 0, v40, v121
	v_fma_f64 v[32:33], v[32:33], 2.0, -v[36:37]
	v_fma_f64 v[34:35], v[34:35], 2.0, -v[38:39]
	ds_write_b128 v40, v[32:35]
	ds_write_b128 v40, v[36:39] offset:448
	v_add_f64 v[32:33], v[28:29], -v[96:97]
	v_add_f64 v[34:35], v[30:31], -v[92:93]
	v_mul_u32_u24_e32 v36, 0x380, v114
	v_add_f64 v[38:39], v[22:23], -v[90:91]
	v_add_f64 v[40:41], v[12:13], -v[88:89]
	v_fma_f64 v[14:15], v[14:15], 2.0, -v[42:43]
	v_fma_f64 v[16:17], v[16:17], 2.0, -v[44:45]
	v_add3_u32 v36, 0, v36, v120
	v_fma_f64 v[28:29], v[28:29], 2.0, -v[32:33]
	v_fma_f64 v[30:31], v[30:31], 2.0, -v[34:35]
	ds_write_b128 v36, v[28:31]
	ds_write_b128 v36, v[32:35] offset:448
	v_add_f64 v[36:37], v[20:21], -v[94:95]
	v_add_f64 v[28:29], v[24:25], -v[116:117]
	;; [unrolled: 1-line block ×3, first 2 shown]
	v_fma_f64 v[22:23], v[22:23], 2.0, -v[38:39]
	v_fma_f64 v[12:13], v[12:13], 2.0, -v[40:41]
	;; [unrolled: 1-line block ×4, first 2 shown]
	v_mul_u32_u24_e32 v24, 0x380, v112
	v_fma_f64 v[34:35], v[26:27], 2.0, -v[30:31]
	v_mul_u32_u24_e32 v27, 0x380, v111
	v_lshlrev_b32_e32 v26, 2, v144
	v_lshlrev_b32_e32 v25, 2, v145
	v_add3_u32 v24, 0, v24, v115
	v_add3_u32 v27, 0, v27, v109
	ds_write_b128 v24, v[36:39] offset:448
	v_mul_u32_u24_e32 v37, 0x380, v110
	v_add3_u32 v37, 0, v37, v108
	ds_write_b128 v24, v[20:23]
	v_mul_u32_u24_e32 v20, 0x380, v156
	v_mul_u32_u24_e32 v24, 0x380, v107
	v_lshlrev_b32_e32 v23, 2, v187
	v_lshlrev_b32_e32 v22, 2, v151
	;; [unrolled: 1-line block ×3, first 2 shown]
	v_add3_u32 v36, 0, v20, v150
	v_add3_u32 v24, 0, v24, v106
	v_lshlrev_b32_e32 v20, 2, v188
	ds_write_b128 v24, v[12:15]
	ds_write_b128 v24, v[40:43] offset:448
	ds_write_b128 v27, v[16:19]
	ds_write_b128 v27, v[44:47] offset:448
	;; [unrolled: 2-line block ×4, first 2 shown]
	s_and_saveexec_b32 s1, s0
	s_cbranch_execz .LBB0_27
; %bb.26:
	v_add_nc_u16 v8, v144, 0x3b8
	v_lshrrev_b16 v9, 2, v8
	v_mul_u32_u24_sdwa v9, v9, v155 dst_sel:DWORD dst_unused:UNUSED_PAD src0_sel:WORD_0 src1_sel:DWORD
	v_lshrrev_b32_e32 v9, 17, v9
	v_mul_lo_u16 v9, v9, 28
	v_sub_nc_u16 v8, v8, v9
	v_lshlrev_b32_sdwa v14, v157, v8 dst_sel:DWORD dst_unused:UNUSED_PAD src0_sel:DWORD src1_sel:WORD_0
	global_load_dwordx4 v[8:11], v14, s[12:13] offset:384
	s_waitcnt vmcnt(0)
	v_mul_f64 v[12:13], v[0:1], v[10:11]
	v_mul_f64 v[10:11], v[2:3], v[10:11]
	v_fma_f64 v[2:3], v[2:3], v[8:9], -v[12:13]
	v_fma_f64 v[0:1], v[0:1], v[8:9], v[10:11]
	v_add_nc_u32_e32 v8, 0, v14
	v_add_f64 v[2:3], v[6:7], -v[2:3]
	v_add_f64 v[0:1], v[4:5], -v[0:1]
	v_fma_f64 v[6:7], v[6:7], 2.0, -v[2:3]
	v_fma_f64 v[4:5], v[4:5], 2.0, -v[0:1]
	ds_write_b128 v8, v[4:7] offset:30464
	ds_write_b128 v8, v[0:3] offset:30912
.LBB0_27:
	s_or_b32 exec_lo, exec_lo, s1
	v_mul_u32_u24_e32 v0, 6, v144
	s_waitcnt lgkmcnt(0)
	s_barrier
	buffer_gl0_inv
	v_lshrrev_b16 v1, 3, v186
	v_lshlrev_b32_e32 v0, 4, v0
	v_mov_b32_e32 v2, 0x2493
	s_mov_b32 s6, 0x37e14327
	s_mov_b32 s14, 0xe976ee23
	;; [unrolled: 1-line block ×3, first 2 shown]
	s_clause 0x5
	global_load_dwordx4 v[29:32], v0, s[12:13] offset:832
	global_load_dwordx4 v[33:36], v0, s[12:13] offset:848
	;; [unrolled: 1-line block ×6, first 2 shown]
	v_mul_u32_u24_sdwa v1, v1, v2 dst_sel:DWORD dst_unused:UNUSED_PAD src0_sel:WORD_0 src1_sel:DWORD
	v_lshrrev_b16 v2, 3, v145
	s_mov_b32 s15, 0x3fe11646
	s_mov_b32 s0, 0x36b3c0b5
	;; [unrolled: 1-line block ×3, first 2 shown]
	v_lshrrev_b32_e32 v1, 16, v1
	v_and_b32_e32 v0, 31, v2
	v_lshrrev_b16 v2, 3, v151
	s_mov_b32 s22, 0xb247c609
	s_mov_b32 s1, 0x3fac98ee
	v_mul_lo_u16 v1, v1, 56
	v_mul_lo_u16 v0, v0, 37
	v_and_b32_e32 v2, 31, v2
	s_mov_b32 s5, 0xbfebfeb5
	s_mov_b32 s23, 0xbfd5d0dc
	v_sub_nc_u16 v1, v186, v1
	v_lshrrev_b16 v0, 8, v0
	v_mul_lo_u16 v2, v2, 37
	s_mov_b32 s16, 0x5476071b
	s_mov_b32 s18, 0x37c3f68c
	v_and_b32_e32 v24, 0xffff, v1
	v_mul_lo_u16 v0, v0, 56
	s_mov_b32 s17, 0x3fe77f67
	s_mov_b32 s21, 0xbfe77f67
	;; [unrolled: 1-line block ×3, first 2 shown]
	v_mul_u32_u24_e32 v1, 6, v24
	v_sub_nc_u16 v0, v145, v0
	s_mov_b32 s19, 0xbfdc38aa
	s_mov_b32 s20, s16
	;; [unrolled: 1-line block ×3, first 2 shown]
	v_lshlrev_b32_e32 v1, 4, v1
	v_and_b32_e32 v143, 0xff, v0
	v_lshrrev_b16 v0, 8, v2
	s_mov_b32 s8, 0xaaaaaaaa
	s_mov_b32 s9, 0xbff2aaaa
	s_clause 0x3
	global_load_dwordx4 v[53:56], v1, s[12:13] offset:832
	global_load_dwordx4 v[57:60], v1, s[12:13] offset:848
	;; [unrolled: 1-line block ×4, first 2 shown]
	v_mul_lo_u16 v0, v0, 56
	v_mul_u32_u24_e32 v2, 6, v143
	global_load_dwordx4 v[69:72], v1, s[12:13] offset:896
	v_lshl_add_u32 v24, v24, 4, 0
	v_sub_nc_u16 v0, v151, v0
	v_lshlrev_b32_e32 v2, 4, v2
	s_clause 0x1
	global_load_dwordx4 v[73:76], v1, s[12:13] offset:912
	global_load_dwordx4 v[77:80], v2, s[12:13] offset:832
	v_and_b32_e32 v145, 0xff, v0
	s_clause 0x3
	global_load_dwordx4 v[81:84], v2, s[12:13] offset:848
	global_load_dwordx4 v[85:88], v2, s[12:13] offset:864
	;; [unrolled: 1-line block ×4, first 2 shown]
	v_mul_u32_u24_e32 v0, 6, v145
	v_lshlrev_b32_e32 v0, 4, v0
	s_clause 0x6
	global_load_dwordx4 v[97:100], v2, s[12:13] offset:912
	global_load_dwordx4 v[101:104], v0, s[12:13] offset:832
	;; [unrolled: 1-line block ×7, first 2 shown]
	ds_read_b128 v[125:128], v185 offset:4480
	ds_read_b128 v[129:132], v185 offset:5376
	;; [unrolled: 1-line block ×4, first 2 shown]
	ds_read_b128 v[16:19], v185
	ds_read_b128 v[12:15], v185 offset:896
	ds_read_b128 v[155:158], v185 offset:8960
	ds_read_b128 v[159:162], v185 offset:9856
	ds_read_b128 v[163:166], v185 offset:17920
	ds_read_b128 v[167:170], v185 offset:18816
	ds_read_b128 v[171:174], v185 offset:26880
	ds_read_b128 v[175:178], v185 offset:27776
	ds_read_b128 v[179:182], v185 offset:6272
	ds_read_b128 v[186:189], v185 offset:14336
	ds_read_b128 v[190:193], v185 offset:15232
	ds_read_b128 v[194:197], v185 offset:23296
	ds_read_b128 v[198:201], v185 offset:24192
	ds_read_b128 v[0:3], v185 offset:3584
	ds_read_b128 v[8:11], v185 offset:1792
	ds_read_b128 v[4:7], v185 offset:2688
	ds_read_b128 v[202:205], v185 offset:10752
	ds_read_b128 v[206:209], v185 offset:11648
	ds_read_b128 v[210:213], v185 offset:19712
	ds_read_b128 v[214:217], v185 offset:20608
	ds_read_b128 v[218:221], v185 offset:12544
	s_waitcnt vmcnt(23) lgkmcnt(24)
	v_mul_f64 v[141:142], v[127:128], v[31:32]
	v_mul_f64 v[150:151], v[125:126], v[31:32]
	s_waitcnt vmcnt(21) lgkmcnt(11)
	v_mul_f64 v[236:237], v[188:189], v[39:40]
	s_waitcnt vmcnt(20)
	v_mul_f64 v[230:231], v[165:166], v[43:44]
	v_mul_f64 v[234:235], v[163:164], v[43:44]
	;; [unrolled: 1-line block ×3, first 2 shown]
	s_waitcnt vmcnt(19)
	v_mul_f64 v[242:243], v[139:140], v[47:48]
	v_mul_f64 v[244:245], v[137:138], v[47:48]
	s_waitcnt lgkmcnt(9)
	v_mul_f64 v[246:247], v[196:197], v[47:48]
	v_mul_f64 v[47:48], v[194:195], v[47:48]
	;; [unrolled: 1-line block ×12, first 2 shown]
	v_fma_f64 v[141:142], v[125:126], v[29:30], v[141:142]
	v_fma_f64 v[150:151], v[127:128], v[29:30], -v[150:151]
	v_fma_f64 v[186:187], v[186:187], v[37:38], v[236:237]
	v_fma_f64 v[163:164], v[163:164], v[41:42], v[230:231]
	v_fma_f64 v[165:166], v[165:166], v[41:42], -v[234:235]
	v_fma_f64 v[167:168], v[167:168], v[41:42], v[238:239]
	s_waitcnt vmcnt(18)
	v_mul_f64 v[230:231], v[173:174], v[51:52]
	v_mul_f64 v[234:235], v[171:172], v[51:52]
	v_fma_f64 v[236:237], v[137:138], v[45:46], v[242:243]
	v_fma_f64 v[238:239], v[139:140], v[45:46], -v[244:245]
	v_mul_f64 v[242:243], v[177:178], v[51:52]
	v_fma_f64 v[194:195], v[194:195], v[45:46], v[246:247]
	v_fma_f64 v[45:46], v[196:197], v[45:46], -v[47:48]
	;; [unrolled: 3-line block ×3, first 2 shown]
	ds_read_b128 v[29:32], v185 offset:28672
	ds_read_b128 v[125:128], v185 offset:29568
	ds_read_b128 v[129:132], v185 offset:21504
	v_fma_f64 v[222:223], v[155:156], v[33:34], v[222:223]
	v_fma_f64 v[224:225], v[157:158], v[33:34], -v[224:225]
	v_fma_f64 v[226:227], v[133:134], v[37:38], v[226:227]
	v_fma_f64 v[228:229], v[135:136], v[37:38], -v[228:229]
	;; [unrolled: 2-line block ×3, first 2 shown]
	ds_read_b128 v[33:36], v185 offset:7168
	ds_read_b128 v[133:136], v185 offset:8064
	v_fma_f64 v[188:189], v[188:189], v[37:38], -v[39:40]
	ds_read_b128 v[37:40], v185 offset:16128
	ds_read_b128 v[155:158], v185 offset:17024
	s_waitcnt vmcnt(16) lgkmcnt(7)
	v_mul_f64 v[196:197], v[220:221], v[59:60]
	v_mul_f64 v[59:60], v[218:219], v[59:60]
	v_fma_f64 v[171:172], v[171:172], v[49:50], v[230:231]
	v_fma_f64 v[173:174], v[173:174], v[49:50], -v[234:235]
	v_fma_f64 v[169:170], v[169:170], v[41:42], -v[43:44]
	ds_read_b128 v[41:44], v185 offset:25088
	ds_read_b128 v[159:162], v185 offset:25984
	v_fma_f64 v[175:176], v[175:176], v[49:50], v[242:243]
	ds_read_b128 v[137:140], v185 offset:30464
	s_waitcnt vmcnt(0) lgkmcnt(0)
	v_fma_f64 v[47:48], v[177:178], v[49:50], -v[47:48]
	v_mul_f64 v[177:178], v[131:132], v[67:68]
	v_mul_f64 v[67:68], v[129:130], v[67:68]
	s_barrier
	buffer_gl0_inv
	v_mul_f64 v[51:52], v[135:136], v[55:56]
	v_mul_f64 v[55:56], v[133:134], v[55:56]
	;; [unrolled: 1-line block ×5, first 2 shown]
	v_fma_f64 v[129:130], v[129:130], v[65:66], v[177:178]
	v_fma_f64 v[65:66], v[131:132], v[65:66], -v[67:68]
	v_mul_f64 v[67:68], v[198:199], v[95:96]
	v_mul_f64 v[131:132], v[35:36], v[103:104]
	v_add_f64 v[177:178], v[224:225], v[238:239]
	v_fma_f64 v[51:52], v[133:134], v[53:54], v[51:52]
	v_fma_f64 v[53:54], v[135:136], v[53:54], -v[55:56]
	v_mul_f64 v[55:56], v[159:160], v[71:72]
	v_mul_f64 v[71:72], v[139:140], v[75:76]
	v_mul_f64 v[75:76], v[137:138], v[75:76]
	v_mul_f64 v[133:134], v[181:182], v[79:80]
	v_fma_f64 v[135:136], v[218:219], v[57:58], v[196:197]
	v_fma_f64 v[57:58], v[220:221], v[57:58], -v[59:60]
	v_mul_f64 v[59:60], v[179:180], v[79:80]
	v_mul_f64 v[79:80], v[204:205], v[83:84]
	v_mul_f64 v[83:84], v[202:203], v[83:84]
	v_mul_f64 v[196:197], v[192:193], v[87:88]
	;; [unrolled: 6-line block ×3, first 2 shown]
	v_mul_f64 v[95:96], v[31:32], v[99:100]
	v_mul_f64 v[99:100], v[29:30], v[99:100]
	v_fma_f64 v[157:158], v[159:160], v[69:70], v[230:231]
	v_mul_f64 v[159:160], v[39:40], v[111:112]
	v_add_f64 v[218:219], v[228:229], v[165:166]
	v_add_f64 v[165:166], v[165:166], -v[228:229]
	v_fma_f64 v[55:56], v[161:162], v[69:70], -v[55:56]
	v_mul_f64 v[69:70], v[33:34], v[103:104]
	v_mul_f64 v[103:104], v[208:209], v[107:108]
	;; [unrolled: 1-line block ×3, first 2 shown]
	v_fma_f64 v[71:72], v[137:138], v[73:74], v[71:72]
	v_fma_f64 v[73:74], v[139:140], v[73:74], -v[75:76]
	v_mul_f64 v[75:76], v[37:38], v[111:112]
	v_mul_f64 v[111:112], v[216:217], v[115:116]
	;; [unrolled: 1-line block ×4, first 2 shown]
	v_fma_f64 v[133:134], v[179:180], v[77:78], v[133:134]
	v_fma_f64 v[59:60], v[181:182], v[77:78], -v[59:60]
	v_mul_f64 v[77:78], v[41:42], v[119:120]
	v_mul_f64 v[119:120], v[127:128], v[123:124]
	;; [unrolled: 1-line block ×3, first 2 shown]
	v_add_f64 v[139:140], v[141:142], v[171:172]
	v_add_f64 v[141:142], v[141:142], -v[171:172]
	v_add_f64 v[161:162], v[150:151], v[173:174]
	v_add_f64 v[150:151], v[150:151], -v[173:174]
	;; [unrolled: 2-line block ×3, first 2 shown]
	v_add_f64 v[179:180], v[224:225], -v[238:239]
	v_add_f64 v[181:182], v[226:227], v[163:164]
	v_add_f64 v[163:164], v[163:164], -v[226:227]
	v_add_f64 v[220:221], v[183:184], v[175:176]
	;; [unrolled: 2-line block ×3, first 2 shown]
	v_add_f64 v[222:223], v[232:233], v[194:195]
	v_add_f64 v[194:195], v[232:233], -v[194:195]
	v_add_f64 v[224:225], v[248:249], v[45:46]
	v_add_f64 v[226:227], v[186:187], v[167:168]
	v_add_f64 v[167:168], v[167:168], -v[186:187]
	v_add_f64 v[186:187], v[188:189], v[169:170]
	v_fma_f64 v[79:80], v[202:203], v[81:82], v[79:80]
	v_fma_f64 v[81:82], v[204:205], v[81:82], -v[83:84]
	v_fma_f64 v[83:84], v[190:191], v[85:86], v[196:197]
	v_fma_f64 v[63:64], v[192:193], v[85:86], -v[63:64]
	;; [unrolled: 2-line block ×5, first 2 shown]
	v_add_f64 v[47:48], v[240:241], -v[47:48]
	v_add_f64 v[45:46], v[248:249], -v[45:46]
	;; [unrolled: 1-line block ×3, first 2 shown]
	v_fma_f64 v[33:34], v[33:34], v[101:102], v[131:132]
	v_fma_f64 v[35:36], v[35:36], v[101:102], -v[69:70]
	v_fma_f64 v[69:70], v[206:207], v[105:106], v[103:104]
	v_fma_f64 v[91:92], v[208:209], v[105:106], -v[107:108]
	;; [unrolled: 2-line block ×6, first 2 shown]
	v_add_f64 v[97:98], v[171:172], v[139:140]
	v_add_f64 v[99:100], v[177:178], v[161:162]
	v_add_f64 v[101:102], v[171:172], -v[139:140]
	v_add_f64 v[103:104], v[177:178], -v[161:162]
	;; [unrolled: 1-line block ×5, first 2 shown]
	v_add_f64 v[113:114], v[163:164], v[173:174]
	v_add_f64 v[117:118], v[163:164], -v[173:174]
	v_add_f64 v[119:120], v[165:166], -v[179:180]
	v_add_f64 v[137:138], v[224:225], v[183:184]
	v_add_f64 v[155:156], v[224:225], -v[183:184]
	v_add_f64 v[161:162], v[183:184], -v[186:187]
	v_add_f64 v[171:172], v[167:168], v[194:195]
	v_add_f64 v[177:178], v[167:168], -v[194:195]
	v_add_f64 v[183:184], v[194:195], -v[175:176]
	v_add_f64 v[188:189], v[51:52], v[71:72]
	v_add_f64 v[190:191], v[53:54], v[73:74]
	v_add_f64 v[192:193], v[51:52], -v[71:72]
	v_add_f64 v[194:195], v[53:54], -v[73:74]
	v_add_f64 v[51:52], v[135:136], v[157:158]
	v_add_f64 v[196:197], v[57:58], v[55:56]
	v_add_f64 v[135:136], v[135:136], -v[157:158]
	v_add_f64 v[157:158], v[57:58], -v[55:56]
	;; [unrolled: 4-line block ×4, first 2 shown]
	v_add_f64 v[29:30], v[79:80], v[89:90]
	v_add_f64 v[31:32], v[81:82], v[67:68]
	v_add_f64 v[105:106], v[139:140], -v[181:182]
	v_add_f64 v[115:116], v[165:166], v[179:180]
	v_add_f64 v[121:122], v[141:142], -v[163:164]
	v_add_f64 v[123:124], v[150:151], -v[165:166]
	;; [unrolled: 1-line block ×4, first 2 shown]
	v_add_f64 v[131:132], v[222:223], v[220:221]
	v_add_f64 v[159:160], v[220:221], -v[226:227]
	v_add_f64 v[163:164], v[226:227], -v[222:223]
	;; [unrolled: 1-line block ×3, first 2 shown]
	v_add_f64 v[173:174], v[169:170], v[45:46]
	v_add_f64 v[179:180], v[169:170], -v[45:46]
	v_add_f64 v[45:46], v[45:46], -v[47:48]
	;; [unrolled: 1-line block ×4, first 2 shown]
	v_add_f64 v[71:72], v[83:84], v[85:86]
	v_add_f64 v[73:74], v[63:64], v[87:88]
	v_add_f64 v[79:80], v[85:86], -v[83:84]
	v_add_f64 v[63:64], v[87:88], -v[63:64]
	v_add_f64 v[81:82], v[33:34], v[77:78]
	v_add_f64 v[83:84], v[35:36], v[95:96]
	v_add_f64 v[77:78], v[33:34], -v[77:78]
	v_add_f64 v[85:86], v[35:36], -v[95:96]
	;; [unrolled: 4-line block ×4, first 2 shown]
	v_add_f64 v[75:76], v[181:182], v[97:98]
	v_add_f64 v[91:92], v[113:114], v[141:142]
	v_mul_f64 v[97:98], v[107:108], s[6:7]
	v_mul_f64 v[107:108], v[117:118], s[14:15]
	;; [unrolled: 1-line block ×5, first 2 shown]
	v_add_f64 v[177:178], v[51:52], v[188:189]
	v_add_f64 v[181:182], v[51:52], -v[188:189]
	v_add_f64 v[200:201], v[53:54], -v[51:52]
	v_add_f64 v[51:52], v[29:30], v[49:50]
	v_add_f64 v[212:213], v[31:32], v[57:58]
	v_add_f64 v[139:140], v[222:223], -v[220:221]
	v_add_f64 v[167:168], v[175:176], -v[167:168]
	;; [unrolled: 1-line block ×3, first 2 shown]
	v_add_f64 v[89:90], v[218:219], v[99:100]
	v_add_f64 v[93:94], v[115:116], v[150:151]
	v_mul_f64 v[95:96], v[105:106], s[6:7]
	v_mul_f64 v[99:100], v[109:110], s[0:1]
	;; [unrolled: 1-line block ×5, first 2 shown]
	v_add_f64 v[119:120], v[226:227], v[131:132]
	v_add_f64 v[131:132], v[186:187], v[137:138]
	;; [unrolled: 1-line block ×4, first 2 shown]
	v_mul_f64 v[137:138], v[159:160], s[6:7]
	v_mul_f64 v[150:151], v[163:164], s[0:1]
	;; [unrolled: 1-line block ×6, first 2 shown]
	v_add_f64 v[179:180], v[196:197], v[190:191]
	v_add_f64 v[186:187], v[188:189], -v[53:54]
	v_add_f64 v[214:215], v[29:30], -v[49:50]
	;; [unrolled: 1-line block ×7, first 2 shown]
	v_add_f64 v[222:223], v[79:80], v[65:66]
	v_add_f64 v[226:227], v[79:80], -v[65:66]
	v_add_f64 v[228:229], v[63:64], -v[67:68]
	;; [unrolled: 1-line block ×3, first 2 shown]
	v_add_f64 v[230:231], v[33:34], v[81:82]
	v_add_f64 v[232:233], v[35:36], v[83:84]
	v_add_f64 v[234:235], v[33:34], -v[81:82]
	v_add_f64 v[236:237], v[35:36], -v[83:84]
	;; [unrolled: 1-line block ×4, first 2 shown]
	v_add_f64 v[242:243], v[37:38], v[41:42]
	v_add_f64 v[244:245], v[39:40], v[43:44]
	v_add_f64 v[246:247], v[37:38], -v[41:42]
	v_add_f64 v[248:249], v[39:40], -v[43:44]
	;; [unrolled: 1-line block ×5, first 2 shown]
	v_fma_f64 v[37:38], v[121:122], s[22:23], v[107:108]
	v_fma_f64 v[39:40], v[123:124], s[22:23], v[113:114]
	v_fma_f64 v[43:44], v[127:128], s[4:5], -v[113:114]
	v_add_f64 v[127:128], v[53:54], v[177:178]
	v_add_f64 v[51:52], v[71:72], v[51:52]
	;; [unrolled: 1-line block ×3, first 2 shown]
	v_add_f64 v[188:189], v[190:191], -v[55:56]
	v_add_f64 v[202:203], v[55:56], -v[196:197]
	v_add_f64 v[224:225], v[63:64], v[67:68]
	v_add_f64 v[79:80], v[61:62], -v[79:80]
	v_add_f64 v[67:68], v[67:68], -v[59:60]
	;; [unrolled: 1-line block ×5, first 2 shown]
	v_add_f64 v[29:30], v[16:17], v[75:76]
	v_add_f64 v[31:32], v[18:19], v[89:90]
	v_fma_f64 v[16:17], v[109:110], s[0:1], v[95:96]
	v_fma_f64 v[18:19], v[111:112], s[0:1], v[97:98]
	v_fma_f64 v[99:100], v[101:102], s[16:17], -v[99:100]
	v_fma_f64 v[105:106], v[103:104], s[16:17], -v[105:106]
	;; [unrolled: 1-line block ×7, first 2 shown]
	v_add_f64 v[33:34], v[12:13], v[119:120]
	v_add_f64 v[35:36], v[14:15], v[131:132]
	v_fma_f64 v[12:13], v[163:164], s[0:1], v[137:138]
	v_fma_f64 v[14:15], v[165:166], s[0:1], v[141:142]
	v_fma_f64 v[107:108], v[139:140], s[16:17], -v[150:151]
	v_fma_f64 v[109:110], v[155:156], s[16:17], -v[159:160]
	;; [unrolled: 1-line block ×4, first 2 shown]
	v_fma_f64 v[115:116], v[167:168], s[22:23], v[161:162]
	v_fma_f64 v[117:118], v[169:170], s[22:23], v[171:172]
	v_fma_f64 v[121:122], v[183:184], s[4:5], -v[161:162]
	v_fma_f64 v[45:46], v[45:46], s[4:5], -v[171:172]
	v_fma_f64 v[123:124], v[167:168], s[24:25], -v[173:174]
	v_fma_f64 v[125:126], v[169:170], s[24:25], -v[175:176]
	v_add_f64 v[137:138], v[55:56], v[179:180]
	v_add_f64 v[55:56], v[222:223], v[61:62]
	v_mul_f64 v[49:50], v[49:50], s[6:7]
	v_mul_f64 v[57:58], v[57:58], s[6:7]
	;; [unrolled: 1-line block ×7, first 2 shown]
	v_add_f64 v[87:88], v[87:88], v[232:233]
	v_add_f64 v[155:156], v[242:243], v[77:78]
	v_mul_f64 v[77:78], v[81:82], s[6:7]
	v_mul_f64 v[81:82], v[83:84], s[6:7]
	v_fma_f64 v[169:170], v[91:92], s[18:19], v[37:38]
	v_fma_f64 v[171:172], v[93:94], s[18:19], v[39:40]
	v_add_f64 v[37:38], v[8:9], v[51:52]
	v_add_f64 v[39:40], v[10:11], v[53:54]
	v_add_f64 v[63:64], v[59:60], -v[63:64]
	v_add_f64 v[59:60], v[224:225], v[59:60]
	v_mul_f64 v[150:151], v[67:68], s[4:5]
	v_add_f64 v[69:70], v[69:70], v[230:231]
	v_add_f64 v[159:160], v[244:245], v[85:86]
	v_mul_f64 v[83:84], v[238:239], s[0:1]
	v_mul_f64 v[85:86], v[240:241], s[0:1]
	v_fma_f64 v[75:76], v[75:76], s[8:9], v[29:30]
	v_fma_f64 v[89:90], v[89:90], s[8:9], v[31:32]
	;; [unrolled: 1-line block ×14, first 2 shown]
	v_fma_f64 v[61:62], v[214:215], s[16:17], -v[61:62]
	v_fma_f64 v[71:72], v[216:217], s[16:17], -v[71:72]
	v_fma_f64 v[131:132], v[214:215], s[20:21], -v[49:50]
	v_fma_f64 v[133:134], v[216:217], s[20:21], -v[57:58]
	v_fma_f64 v[45:46], v[79:80], s[22:23], v[73:74]
	v_fma_f64 v[49:50], v[65:66], s[4:5], -v[73:74]
	v_fma_f64 v[57:58], v[67:68], s[4:5], -v[139:140]
	;; [unrolled: 1-line block ×3, first 2 shown]
	v_add_f64 v[43:44], v[6:7], v[87:88]
	v_fma_f64 v[6:7], v[240:241], s[0:1], v[81:82]
	v_fma_f64 v[177:178], v[236:237], s[20:21], -v[81:82]
	v_fma_f64 v[79:80], v[51:52], s[8:9], v[37:38]
	v_fma_f64 v[81:82], v[53:54], s[8:9], v[39:40]
	v_add_f64 v[204:205], v[129:130], -v[135:136]
	v_add_f64 v[206:207], v[198:199], -v[157:158]
	;; [unrolled: 1-line block ×4, first 2 shown]
	v_fma_f64 v[117:118], v[47:48], s[18:19], v[117:118]
	v_fma_f64 v[125:126], v[47:48], s[18:19], v[125:126]
	;; [unrolled: 1-line block ×3, first 2 shown]
	v_fma_f64 v[63:64], v[63:64], s[24:25], -v[150:151]
	v_add_f64 v[41:42], v[4:5], v[69:70]
	v_fma_f64 v[4:5], v[238:239], s[0:1], v[77:78]
	v_fma_f64 v[139:140], v[234:235], s[16:17], -v[83:84]
	v_fma_f64 v[141:142], v[236:237], s[16:17], -v[85:86]
	;; [unrolled: 1-line block ×3, first 2 shown]
	v_add_f64 v[16:17], v[16:17], v[75:76]
	v_add_f64 v[18:19], v[18:19], v[89:90]
	;; [unrolled: 1-line block ×12, first 2 shown]
	v_fma_f64 v[107:108], v[55:56], s[18:19], v[49:50]
	v_fma_f64 v[105:106], v[59:60], s[18:19], v[57:58]
	v_add_f64 v[109:110], v[61:62], v[79:80]
	v_add_f64 v[111:112], v[71:72], v[81:82]
	v_mul_f64 v[161:162], v[246:247], s[14:15]
	v_mul_f64 v[163:164], v[248:249], s[14:15]
	;; [unrolled: 1-line block ×4, first 2 shown]
	v_fma_f64 v[179:180], v[55:56], s[18:19], v[45:46]
	v_fma_f64 v[183:184], v[59:60], s[18:19], v[47:48]
	;; [unrolled: 1-line block ×6, first 2 shown]
	v_add_f64 v[45:46], v[171:172], v[16:17]
	v_add_f64 v[51:52], v[73:74], -v[91:92]
	v_add_f64 v[53:54], v[75:76], -v[175:176]
	v_add_f64 v[55:56], v[173:174], v[77:78]
	v_add_f64 v[57:58], v[175:176], v[75:76]
	v_add_f64 v[59:60], v[77:78], -v[173:174]
	v_add_f64 v[8:9], v[8:9], v[79:80]
	v_add_f64 v[10:11], v[10:11], v[81:82]
	;; [unrolled: 1-line block ×5, first 2 shown]
	v_add_f64 v[65:66], v[16:17], -v[171:172]
	v_add_f64 v[69:70], v[117:118], v[12:13]
	v_add_f64 v[71:72], v[14:15], -v[115:116]
	v_add_f64 v[73:74], v[125:126], v[89:90]
	v_add_f64 v[75:76], v[95:96], -v[123:124]
	v_add_f64 v[77:78], v[83:84], -v[121:122]
	v_add_f64 v[79:80], v[119:120], v[85:86]
	v_add_f64 v[81:82], v[121:122], v[83:84]
	v_add_f64 v[83:84], v[85:86], -v[119:120]
	v_add_f64 v[85:86], v[89:90], -v[125:126]
	v_add_f64 v[87:88], v[123:124], v[95:96]
	v_add_f64 v[89:90], v[12:13], -v[117:118]
	v_add_f64 v[91:92], v[115:116], v[14:15]
	;; [unrolled: 2-line block ×3, first 2 shown]
	v_add_f64 v[105:106], v[105:106], v[109:110]
	v_add_f64 v[107:108], v[111:112], -v[107:108]
	v_add_f64 v[12:13], v[196:197], -v[190:191]
	v_add_f64 v[14:15], v[129:130], v[135:136]
	v_add_f64 v[16:17], v[198:199], v[157:158]
	;; [unrolled: 1-line block ×4, first 2 shown]
	v_mul_f64 v[0:1], v[186:187], s[6:7]
	v_mul_f64 v[2:3], v[188:189], s[6:7]
	;; [unrolled: 1-line block ×3, first 2 shown]
	v_add_f64 v[117:118], v[192:193], -v[129:130]
	v_add_f64 v[119:120], v[194:195], -v[198:199]
	v_mul_f64 v[121:122], v[206:207], s[14:15]
	v_mul_f64 v[123:124], v[204:205], s[14:15]
	;; [unrolled: 1-line block ×4, first 2 shown]
	v_add_f64 v[47:48], v[18:19], -v[169:170]
	v_add_f64 v[49:50], v[93:94], v[67:68]
	v_add_f64 v[61:62], v[67:68], -v[93:94]
	v_add_f64 v[67:68], v[169:170], v[18:19]
	v_mul_f64 v[18:19], v[200:201], s[0:1]
	v_fma_f64 v[135:136], v[250:251], s[22:23], v[161:162]
	v_fma_f64 v[157:158], v[252:253], s[22:23], v[163:164]
	v_fma_f64 v[161:162], v[254:255], s[4:5], -v[161:162]
	v_fma_f64 v[27:28], v[27:28], s[4:5], -v[163:164]
	v_fma_f64 v[163:164], v[250:251], s[24:25], -v[165:166]
	v_fma_f64 v[165:166], v[252:253], s[24:25], -v[167:168]
	v_add_f64 v[14:15], v[14:15], v[192:193]
	v_add_f64 v[16:17], v[16:17], v[194:195]
	v_fma_f64 v[127:128], v[127:128], s[8:9], v[109:110]
	v_fma_f64 v[137:138], v[137:138], s[8:9], v[111:112]
	;; [unrolled: 1-line block ×4, first 2 shown]
	v_fma_f64 v[115:116], v[12:13], s[16:17], -v[115:116]
	v_fma_f64 v[0:1], v[181:182], s[20:21], -v[0:1]
	;; [unrolled: 1-line block ×3, first 2 shown]
	v_fma_f64 v[12:13], v[119:120], s[22:23], v[121:122]
	v_fma_f64 v[171:172], v[117:118], s[22:23], v[123:124]
	v_fma_f64 v[119:120], v[119:120], s[24:25], -v[125:126]
	v_fma_f64 v[117:118], v[117:118], s[24:25], -v[129:130]
	v_fma_f64 v[121:122], v[210:211], s[4:5], -v[121:122]
	v_fma_f64 v[123:124], v[208:209], s[4:5], -v[123:124]
	v_fma_f64 v[18:19], v[181:182], s[16:17], -v[18:19]
	v_add_f64 v[4:5], v[4:5], v[214:215]
	v_add_f64 v[6:7], v[6:7], v[216:217]
	;; [unrolled: 1-line block ×4, first 2 shown]
	v_fma_f64 v[157:158], v[159:160], s[18:19], v[157:158]
	v_fma_f64 v[175:176], v[155:156], s[18:19], v[135:136]
	;; [unrolled: 1-line block ×4, first 2 shown]
	v_add_f64 v[150:151], v[150:151], v[214:215]
	v_add_f64 v[173:174], v[177:178], v[216:217]
	v_fma_f64 v[165:166], v[159:160], s[18:19], v[165:166]
	v_fma_f64 v[163:164], v[155:156], s[18:19], v[163:164]
	v_add_f64 v[177:178], v[115:116], v[137:138]
	v_add_f64 v[181:182], v[0:1], v[127:128]
	v_add_f64 v[186:187], v[2:3], v[137:138]
	v_fma_f64 v[188:189], v[16:17], s[18:19], v[12:13]
	v_fma_f64 v[171:172], v[14:15], s[18:19], v[171:172]
	;; [unrolled: 1-line block ×6, first 2 shown]
	v_add_f64 v[18:19], v[18:19], v[127:128]
	v_add_f64 v[167:168], v[167:168], v[127:128]
	;; [unrolled: 1-line block ×4, first 2 shown]
	v_add_f64 v[113:114], v[131:132], -v[113:114]
	v_add_f64 v[115:116], v[212:213], v[133:134]
	v_add_f64 v[117:118], v[8:9], -v[183:184]
	v_add_f64 v[119:120], v[179:180], v[10:11]
	v_add_f64 v[93:94], v[183:184], v[8:9]
	v_add_f64 v[95:96], v[10:11], -v[179:180]
	v_add_f64 v[121:122], v[157:158], v[4:5]
	v_add_f64 v[123:124], v[6:7], -v[175:176]
	v_add_f64 v[129:130], v[139:140], -v[27:28]
	v_add_f64 v[131:132], v[135:136], v[141:142]
	v_add_f64 v[99:100], v[133:134], -v[212:213]
	v_add_f64 v[125:126], v[165:166], v[150:151]
	;; [unrolled: 2-line block ×3, first 2 shown]
	v_add_f64 v[0:1], v[12:13], v[181:182]
	v_add_f64 v[2:3], v[186:187], -v[190:191]
	v_add_f64 v[135:136], v[141:142], -v[135:136]
	v_add_f64 v[155:156], v[4:5], -v[157:158]
	v_add_f64 v[157:158], v[175:176], v[6:7]
	v_add_f64 v[4:5], v[18:19], -v[16:17]
	v_add_f64 v[6:7], v[14:15], v[177:178]
	v_add_f64 v[137:138], v[150:151], -v[165:166]
	v_add_f64 v[139:140], v[163:164], v[173:174]
	v_add_f64 v[8:9], v[16:17], v[18:19]
	v_add_f64 v[10:11], v[177:178], -v[14:15]
	v_add_f64 v[12:13], v[181:182], -v[12:13]
	v_add_f64 v[14:15], v[190:191], v[186:187]
	v_add_f64 v[159:160], v[188:189], v[167:168]
	v_add_f64 v[161:162], v[169:170], -v[171:172]
	v_add_f64 v[16:17], v[167:168], -v[188:189]
	v_add_f64 v[18:19], v[171:172], v[169:170]
	v_lshl_add_u32 v27, v143, 4, 0
	v_lshl_add_u32 v28, v145, 4, 0
	ds_write_b128 v185, v[29:32]
	ds_write_b128 v185, v[45:48] offset:896
	ds_write_b128 v185, v[49:52] offset:1792
	;; [unrolled: 1-line block ×23, first 2 shown]
	v_mov_b32_e32 v27, v154
	ds_write_b128 v28, v[129:132] offset:21504
	ds_write_b128 v28, v[133:136] offset:22400
	;; [unrolled: 1-line block ×10, first 2 shown]
	v_lshlrev_b64 v[0:1], 4, v[26:27]
	v_mov_b32_e32 v26, v154
	s_mov_b32 s6, 0x134454ff
	s_mov_b32 s7, 0xbfee6f0e
	;; [unrolled: 1-line block ×3, first 2 shown]
	ds_write_b128 v24, v[16:19] offset:30464
	v_add_co_u32 v4, s0, s12, v0
	v_mov_b32_e32 v24, v154
	v_add_co_ci_u32_e64 v5, s0, s13, v1, s0
	v_add_co_u32 v0, s0, 0x1840, v4
	v_lshlrev_b64 v[2:3], 4, v[23:24]
	v_add_co_ci_u32_e64 v1, s0, 0, v5, s0
	v_add_co_u32 v4, s0, 0x1800, v4
	v_add_co_ci_u32_e64 v5, s0, 0, v5, s0
	v_add_co_u32 v6, s0, s12, v2
	v_add_co_ci_u32_e64 v7, s0, s13, v3, s0
	s_waitcnt lgkmcnt(0)
	v_add_co_u32 v2, s0, 0x1800, v6
	s_barrier
	buffer_gl0_inv
	s_clause 0x1
	global_load_dwordx4 v[16:19], v[4:5], off offset:64
	global_load_dwordx4 v[12:15], v[0:1], off offset:48
	v_add_co_ci_u32_e64 v3, s0, 0, v7, s0
	s_clause 0x1
	global_load_dwordx4 v[27:30], v[0:1], off offset:32
	global_load_dwordx4 v[31:34], v[0:1], off offset:16
	v_add_co_u32 v4, s0, 0x1840, v6
	v_lshlrev_b64 v[0:1], 4, v[25:26]
	v_add_co_ci_u32_e64 v5, s0, 0, v7, s0
	s_clause 0x3
	global_load_dwordx4 v[35:38], v[2:3], off offset:64
	global_load_dwordx4 v[39:42], v[4:5], off offset:48
	;; [unrolled: 1-line block ×4, first 2 shown]
	v_add_co_u32 v4, s0, s12, v0
	v_mov_b32_e32 v23, v154
	v_add_co_ci_u32_e64 v5, s0, s13, v1, s0
	v_add_co_u32 v0, s0, 0x1840, v4
	v_lshlrev_b64 v[2:3], 4, v[22:23]
	v_add_co_ci_u32_e64 v1, s0, 0, v5, s0
	v_add_co_u32 v4, s0, 0x1800, v4
	v_add_co_ci_u32_e64 v5, s0, 0, v5, s0
	v_add_co_u32 v6, s0, s12, v2
	v_add_co_ci_u32_e64 v7, s0, s13, v3, s0
	v_mov_b32_e32 v22, v154
	s_clause 0x1
	global_load_dwordx4 v[23:26], v[4:5], off offset:64
	global_load_dwordx4 v[56:59], v[0:1], off offset:48
	v_add_co_u32 v2, s0, 0x1800, v6
	v_add_co_ci_u32_e64 v3, s0, 0, v7, s0
	v_add_co_u32 v4, s0, 0x1840, v6
	s_clause 0x1
	global_load_dwordx4 v[60:63], v[0:1], off offset:32
	global_load_dwordx4 v[64:67], v[0:1], off offset:16
	v_lshlrev_b64 v[0:1], 4, v[21:22]
	v_add_co_ci_u32_e64 v5, s0, 0, v7, s0
	s_clause 0x3
	global_load_dwordx4 v[68:71], v[2:3], off offset:64
	global_load_dwordx4 v[72:75], v[4:5], off offset:48
	;; [unrolled: 1-line block ×4, first 2 shown]
	v_add_co_u32 v4, s0, s12, v0
	v_mov_b32_e32 v21, v154
	v_add_co_ci_u32_e64 v5, s0, s13, v1, s0
	v_add_co_u32 v0, s0, 0x1800, v4
	v_lshlrev_b64 v[2:3], 4, v[20:21]
	v_add_co_ci_u32_e64 v1, s0, 0, v5, s0
	v_add_co_u32 v4, s0, 0x1840, v4
	v_add_co_ci_u32_e64 v5, s0, 0, v5, s0
	v_add_co_u32 v2, s0, s12, v2
	v_add_co_ci_u32_e64 v3, s0, s13, v3, s0
	s_clause 0x1
	global_load_dwordx4 v[84:87], v[0:1], off offset:64
	global_load_dwordx4 v[88:91], v[4:5], off offset:16
	v_add_co_u32 v0, s0, 0x1800, v2
	v_lshlrev_b64 v[6:7], 4, v[153:154]
	v_add_co_ci_u32_e64 v1, s0, 0, v3, s0
	v_add_co_u32 v2, s0, 0x1840, v2
	v_add_co_ci_u32_e64 v3, s0, 0, v3, s0
	s_clause 0x3
	global_load_dwordx4 v[96:99], v[4:5], off offset:32
	global_load_dwordx4 v[124:127], v[4:5], off offset:48
	;; [unrolled: 1-line block ×4, first 2 shown]
	v_add_co_u32 v4, s0, s12, v6
	v_add_co_ci_u32_e64 v5, s0, s13, v7, s0
	s_clause 0x1
	global_load_dwordx4 v[136:139], v[2:3], off offset:32
	global_load_dwordx4 v[140:143], v[2:3], off offset:16
	v_add_co_u32 v0, s0, 0x1800, v4
	v_add_co_ci_u32_e64 v1, s0, 0, v5, s0
	v_add_co_u32 v2, s0, 0x1840, v4
	v_add_co_ci_u32_e64 v3, s0, 0, v5, s0
	s_clause 0x3
	global_load_dwordx4 v[150:153], v[0:1], off offset:64
	global_load_dwordx4 v[154:157], v[2:3], off offset:16
	;; [unrolled: 1-line block ×4, first 2 shown]
	ds_read_b128 v[92:95], v185 offset:6272
	ds_read_b128 v[100:103], v185 offset:12544
	;; [unrolled: 1-line block ×3, first 2 shown]
	ds_read_b128 v[166:169], v185
	ds_read_b128 v[170:173], v185 offset:896
	ds_read_b128 v[108:111], v185 offset:13440
	;; [unrolled: 1-line block ×13, first 2 shown]
	s_mov_b32 s13, 0x3fee6f0e
	s_mov_b32 s12, s6
	;; [unrolled: 1-line block ×7, first 2 shown]
	s_waitcnt vmcnt(27) lgkmcnt(16)
	v_mul_f64 v[182:183], v[94:95], v[18:19]
	v_mul_f64 v[234:235], v[92:93], v[18:19]
	s_waitcnt vmcnt(26) lgkmcnt(10)
	v_mul_f64 v[242:243], v[114:115], v[14:15]
	s_waitcnt vmcnt(25)
	v_mul_f64 v[240:241], v[106:107], v[29:30]
	s_waitcnt vmcnt(24)
	v_mul_f64 v[238:239], v[102:103], v[33:34]
	v_mul_f64 v[33:34], v[100:101], v[33:34]
	;; [unrolled: 1-line block ×3, first 2 shown]
	ds_read_b128 v[18:21], v185 offset:26880
	ds_read_b128 v[202:205], v185 offset:27776
	;; [unrolled: 1-line block ×5, first 2 shown]
	v_mul_f64 v[244:245], v[112:113], v[14:15]
	s_waitcnt vmcnt(23) lgkmcnt(13)
	v_mul_f64 v[246:247], v[122:123], v[37:38]
	v_mul_f64 v[37:38], v[120:121], v[37:38]
	s_waitcnt vmcnt(20)
	v_mul_f64 v[248:249], v[110:111], v[54:55]
	v_mul_f64 v[54:55], v[108:109], v[54:55]
	ds_read_b128 v[218:221], v185 offset:21504
	ds_read_b128 v[222:225], v185 offset:22400
	;; [unrolled: 1-line block ×6, first 2 shown]
	v_fma_f64 v[182:183], v[92:93], v[16:17], v[182:183]
	s_waitcnt lgkmcnt(17)
	v_mul_f64 v[92:93], v[180:181], v[50:51]
	v_mul_f64 v[50:51], v[178:179], v[50:51]
	v_fma_f64 v[250:251], v[94:95], v[16:17], -v[234:235]
	v_fma_f64 v[252:253], v[100:101], v[31:32], v[238:239]
	v_fma_f64 v[254:255], v[102:103], v[31:32], -v[33:34]
	v_fma_f64 v[100:101], v[106:107], v[27:28], -v[29:30]
	v_mul_f64 v[102:103], v[118:119], v[41:42]
	v_mul_f64 v[41:42], v[116:117], v[41:42]
	s_waitcnt vmcnt(19)
	v_mul_f64 v[106:107], v[176:177], v[25:26]
	v_mul_f64 v[25:26], v[174:175], v[25:26]
	v_fma_f64 v[94:95], v[104:105], v[27:28], v[240:241]
	v_fma_f64 v[104:105], v[112:113], v[12:13], v[242:243]
	;; [unrolled: 1-line block ×3, first 2 shown]
	v_fma_f64 v[52:53], v[110:111], v[52:53], -v[54:55]
	ds_read_b128 v[14:17], v185 offset:28672
	ds_read_b128 v[234:237], v185 offset:29568
	s_waitcnt vmcnt(17) lgkmcnt(18)
	v_mul_f64 v[108:109], v[188:189], v[62:63]
	s_waitcnt vmcnt(16) lgkmcnt(15)
	v_mul_f64 v[54:55], v[196:197], v[66:67]
	v_mul_f64 v[66:67], v[194:195], v[66:67]
	;; [unrolled: 1-line block ×3, first 2 shown]
	ds_read_b128 v[27:30], v185 offset:10752
	ds_read_b128 v[31:34], v185 offset:11648
	v_fma_f64 v[12:13], v[114:115], v[12:13], -v[244:245]
	v_fma_f64 v[246:247], v[120:121], v[35:36], v[246:247]
	v_fma_f64 v[178:179], v[178:179], v[48:49], v[92:93]
	v_fma_f64 v[48:49], v[180:181], v[48:49], -v[50:51]
	s_waitcnt lgkmcnt(14)
	v_mul_f64 v[50:51], v[20:21], v[58:59]
	v_mul_f64 v[58:59], v[18:19], v[58:59]
	s_waitcnt vmcnt(15) lgkmcnt(12)
	v_mul_f64 v[92:93], v[208:209], v[70:71]
	v_mul_f64 v[70:71], v[206:207], v[70:71]
	v_fma_f64 v[180:181], v[116:117], v[39:40], v[102:103]
	v_fma_f64 v[42:43], v[118:119], v[39:40], -v[41:42]
	s_waitcnt vmcnt(12)
	v_mul_f64 v[39:40], v[200:201], v[82:83]
	v_mul_f64 v[82:83], v[198:199], v[82:83]
	v_fma_f64 v[106:107], v[174:175], v[23:24], v[106:107]
	v_fma_f64 v[176:177], v[176:177], v[23:24], -v[25:26]
	v_mul_f64 v[22:23], v[204:205], v[74:75]
	v_fma_f64 v[112:113], v[122:123], v[35:36], -v[37:38]
	ds_read_b128 v[35:38], v185 offset:23296
	ds_read_b128 v[238:241], v185 offset:24192
	;; [unrolled: 1-line block ×3, first 2 shown]
	s_waitcnt lgkmcnt(12)
	v_mul_f64 v[102:103], v[220:221], v[78:79]
	v_mul_f64 v[78:79], v[218:219], v[78:79]
	;; [unrolled: 1-line block ×3, first 2 shown]
	v_fma_f64 v[194:195], v[194:195], v[64:65], v[54:55]
	v_fma_f64 v[196:197], v[196:197], v[64:65], -v[66:67]
	s_waitcnt vmcnt(10) lgkmcnt(8)
	v_mul_f64 v[54:55], v[228:229], v[90:91]
	v_mul_f64 v[64:65], v[226:227], v[90:91]
	v_fma_f64 v[186:187], v[186:187], v[60:61], v[108:109]
	v_fma_f64 v[188:189], v[188:189], v[60:61], -v[62:63]
	v_fma_f64 v[18:19], v[18:19], v[56:57], v[50:51]
	v_fma_f64 v[58:59], v[20:21], v[56:57], -v[58:59]
	v_fma_f64 v[120:121], v[206:207], v[68:69], v[92:93]
	s_waitcnt vmcnt(9)
	v_mul_f64 v[66:67], v[224:225], v[98:99]
	v_mul_f64 v[90:91], v[222:223], v[98:99]
	s_waitcnt vmcnt(8) lgkmcnt(6)
	v_mul_f64 v[60:61], v[16:17], v[126:127]
	v_mul_f64 v[62:63], v[14:15], v[126:127]
	s_waitcnt vmcnt(7) lgkmcnt(4)
	v_mul_f64 v[126:127], v[29:30], v[130:131]
	v_mul_f64 v[130:131], v[27:28], v[130:131]
	v_fma_f64 v[110:111], v[208:209], v[68:69], -v[70:71]
	s_waitcnt vmcnt(5) lgkmcnt(2)
	v_mul_f64 v[56:57], v[37:38], v[138:139]
	s_waitcnt vmcnt(4)
	v_mul_f64 v[20:21], v[232:233], v[142:143]
	v_mul_f64 v[68:69], v[236:237], v[134:135]
	v_fma_f64 v[174:175], v[200:201], v[80:81], -v[82:83]
	v_add_f64 v[70:71], v[252:253], v[94:95]
	v_add_f64 v[82:83], v[182:183], v[104:105]
	v_fma_f64 v[118:119], v[202:203], v[72:73], v[22:23]
	v_add_f64 v[22:23], v[254:255], v[100:101]
	v_mul_f64 v[74:75], v[212:213], v[86:87]
	s_waitcnt vmcnt(3)
	v_mul_f64 v[206:207], v[33:34], v[152:153]
	v_mul_f64 v[208:209], v[31:32], v[152:153]
	;; [unrolled: 1-line block ×6, first 2 shown]
	v_fma_f64 v[122:123], v[198:199], v[80:81], v[39:40]
	s_waitcnt vmcnt(2)
	v_mul_f64 v[39:40], v[216:217], v[156:157]
	v_mul_f64 v[80:81], v[214:215], v[156:157]
	v_fma_f64 v[116:117], v[218:219], v[76:77], v[102:103]
	v_fma_f64 v[114:115], v[220:221], v[76:77], -v[78:79]
	s_waitcnt vmcnt(1) lgkmcnt(1)
	v_mul_f64 v[76:77], v[240:241], v[160:161]
	v_mul_f64 v[156:157], v[238:239], v[160:161]
	s_waitcnt vmcnt(0) lgkmcnt(0)
	v_mul_f64 v[198:199], v[244:245], v[164:165]
	v_mul_f64 v[200:201], v[242:243], v[164:165]
	v_fma_f64 v[142:143], v[204:205], v[72:73], -v[24:25]
	v_fma_f64 v[160:161], v[226:227], v[88:89], v[54:55]
	v_fma_f64 v[164:165], v[228:229], v[88:89], -v[64:65]
	v_fma_f64 v[152:153], v[222:223], v[96:97], v[66:67]
	;; [unrolled: 2-line block ×3, first 2 shown]
	v_fma_f64 v[96:97], v[16:17], v[124:125], -v[62:63]
	v_add_f64 v[14:15], v[166:167], v[182:183]
	v_add_f64 v[16:17], v[250:251], -v[12:13]
	v_fma_f64 v[24:25], v[70:71], -0.5, v[166:167]
	v_add_f64 v[54:55], v[254:255], -v[100:101]
	v_fma_f64 v[90:91], v[82:83], -0.5, v[166:167]
	v_fma_f64 v[88:89], v[27:28], v[128:129], v[126:127]
	v_fma_f64 v[70:71], v[29:30], v[128:129], -v[130:131]
	v_fma_f64 v[78:79], v[230:231], v[140:141], v[20:21]
	v_fma_f64 v[82:83], v[35:36], v[136:137], v[56:57]
	;; [unrolled: 1-line block ×4, first 2 shown]
	v_fma_f64 v[66:67], v[33:34], v[150:151], -v[208:209]
	v_add_f64 v[20:21], v[182:183], -v[252:253]
	v_add_f64 v[26:27], v[168:169], v[250:251]
	v_add_f64 v[32:33], v[182:183], -v[104:105]
	v_fma_f64 v[22:23], v[22:23], -0.5, v[168:169]
	v_add_f64 v[28:29], v[104:105], -v[94:95]
	v_add_f64 v[34:35], v[250:251], v[12:13]
	v_fma_f64 v[108:109], v[210:211], v[84:85], v[74:75]
	v_fma_f64 v[92:93], v[212:213], v[84:85], -v[86:87]
	v_fma_f64 v[72:73], v[232:233], v[140:141], -v[50:51]
	;; [unrolled: 1-line block ×4, first 2 shown]
	v_add_f64 v[30:31], v[252:253], -v[182:183]
	v_add_f64 v[36:37], v[94:95], -v[104:105]
	v_add_f64 v[14:15], v[14:15], v[252:253]
	v_fma_f64 v[50:51], v[16:17], s[6:7], v[24:25]
	v_fma_f64 v[24:25], v[16:17], s[12:13], v[24:25]
	;; [unrolled: 1-line block ×4, first 2 shown]
	v_add_f64 v[38:39], v[248:249], v[178:179]
	v_add_f64 v[40:41], v[246:247], v[180:181]
	v_add_f64 v[124:125], v[252:253], -v[94:95]
	v_add_f64 v[126:127], v[250:251], -v[254:255]
	;; [unrolled: 1-line block ×3, first 2 shown]
	v_fma_f64 v[132:133], v[54:55], s[6:7], v[90:91]
	v_add_f64 v[26:27], v[26:27], v[254:255]
	v_fma_f64 v[134:135], v[32:33], s[12:13], v[22:23]
	v_add_f64 v[136:137], v[52:53], v[48:49]
	v_add_f64 v[138:139], v[20:21], v[28:29]
	v_fma_f64 v[20:21], v[34:35], -0.5, v[168:169]
	v_fma_f64 v[86:87], v[216:217], v[154:155], -v[80:81]
	v_fma_f64 v[80:81], v[238:239], v[158:159], v[76:77]
	v_fma_f64 v[76:77], v[240:241], v[158:159], -v[156:157]
	v_add_f64 v[130:131], v[170:171], v[246:247]
	v_add_f64 v[140:141], v[172:173], v[112:113]
	;; [unrolled: 1-line block ×4, first 2 shown]
	v_fma_f64 v[34:35], v[54:55], s[4:5], v[50:51]
	v_fma_f64 v[24:25], v[54:55], s[8:9], v[24:25]
	;; [unrolled: 1-line block ×3, first 2 shown]
	v_add_f64 v[50:51], v[112:113], -v[42:43]
	v_fma_f64 v[38:39], v[38:39], -0.5, v[170:171]
	v_add_f64 v[56:57], v[52:53], -v[48:49]
	v_fma_f64 v[40:41], v[40:41], -0.5, v[170:171]
	v_add_f64 v[94:95], v[100:101], -v[12:13]
	v_add_f64 v[150:151], v[246:247], -v[180:181]
	v_add_f64 v[156:157], v[112:113], v[42:43]
	v_add_f64 v[126:127], v[126:127], v[128:129]
	v_fma_f64 v[16:17], v[16:17], s[8:9], v[132:133]
	v_add_f64 v[26:27], v[26:27], v[100:101]
	v_fma_f64 v[100:101], v[124:125], s[8:9], v[134:135]
	v_fma_f64 v[128:129], v[136:137], -0.5, v[172:173]
	v_fma_f64 v[132:133], v[32:33], s[6:7], v[22:23]
	v_fma_f64 v[134:135], v[124:125], s[6:7], v[20:21]
	;; [unrolled: 1-line block ×3, first 2 shown]
	v_fma_f64 v[90:91], v[244:245], v[162:163], -v[200:201]
	v_add_f64 v[54:55], v[254:255], -v[250:251]
	v_fma_f64 v[136:137], v[124:125], s[12:13], v[20:21]
	v_add_f64 v[28:29], v[14:15], v[104:105]
	v_fma_f64 v[20:21], v[138:139], s[0:1], v[34:35]
	v_fma_f64 v[154:155], v[138:139], s[0:1], v[24:25]
	;; [unrolled: 1-line block ×3, first 2 shown]
	v_add_f64 v[34:35], v[130:131], v[248:249]
	v_fma_f64 v[36:37], v[50:51], s[6:7], v[38:39]
	v_add_f64 v[104:105], v[246:247], -v[248:249]
	v_add_f64 v[130:131], v[180:181], -v[178:179]
	v_fma_f64 v[38:39], v[50:51], s[12:13], v[38:39]
	v_fma_f64 v[138:139], v[56:57], s[12:13], v[40:41]
	v_add_f64 v[158:159], v[248:249], -v[246:247]
	v_add_f64 v[162:163], v[178:179], -v[180:181]
	v_fma_f64 v[40:41], v[56:57], s[6:7], v[40:41]
	v_add_f64 v[166:167], v[248:249], -v[178:179]
	v_fma_f64 v[168:169], v[156:157], -0.5, v[172:173]
	v_fma_f64 v[24:25], v[30:31], s[0:1], v[16:17]
	v_add_f64 v[30:31], v[26:27], v[12:13]
	v_fma_f64 v[22:23], v[126:127], s[0:1], v[100:101]
	v_add_f64 v[12:13], v[194:195], v[186:187]
	v_fma_f64 v[16:17], v[124:125], s[4:5], v[132:133]
	v_fma_f64 v[26:27], v[32:33], s[8:9], v[134:135]
	v_add_f64 v[100:101], v[140:141], v[52:53]
	v_fma_f64 v[124:125], v[150:151], s[12:13], v[128:129]
	v_add_f64 v[132:133], v[112:113], -v[52:53]
	v_add_f64 v[134:135], v[42:43], -v[48:49]
	v_add_f64 v[54:55], v[54:55], v[94:95]
	v_fma_f64 v[32:33], v[32:33], s[4:5], v[136:137]
	v_add_f64 v[34:35], v[34:35], v[178:179]
	v_fma_f64 v[36:37], v[56:57], s[4:5], v[36:37]
	v_add_f64 v[94:95], v[104:105], v[130:131]
	v_add_f64 v[104:105], v[106:107], v[18:19]
	v_fma_f64 v[38:39], v[56:57], s[8:9], v[38:39]
	v_fma_f64 v[56:57], v[50:51], s[4:5], v[138:139]
	v_add_f64 v[130:131], v[158:159], v[162:163]
	v_fma_f64 v[50:51], v[50:51], s[8:9], v[40:41]
	v_fma_f64 v[128:129], v[150:151], s[6:7], v[128:129]
	;; [unrolled: 1-line block ×3, first 2 shown]
	v_add_f64 v[112:113], v[52:53], -v[112:113]
	v_add_f64 v[138:139], v[48:49], -v[42:43]
	v_add_f64 v[140:141], v[190:191], v[106:107]
	v_fma_f64 v[12:13], v[12:13], -0.5, v[190:191]
	v_add_f64 v[158:159], v[176:177], -v[58:59]
	v_fma_f64 v[156:157], v[126:127], s[0:1], v[16:17]
	v_add_f64 v[126:127], v[196:197], v[188:189]
	v_add_f64 v[100:101], v[100:101], v[48:49]
	v_fma_f64 v[124:125], v[166:167], s[8:9], v[124:125]
	v_add_f64 v[132:133], v[132:133], v[134:135]
	v_add_f64 v[134:135], v[176:177], v[58:59]
	v_fma_f64 v[16:17], v[54:55], s[0:1], v[26:27]
	v_fma_f64 v[26:27], v[54:55], s[0:1], v[32:33]
	v_add_f64 v[52:53], v[34:35], v[180:181]
	v_add_f64 v[162:163], v[196:197], -v[188:189]
	v_fma_f64 v[34:35], v[104:105], -0.5, v[190:191]
	v_fma_f64 v[48:49], v[94:95], s[0:1], v[36:37]
	v_fma_f64 v[32:33], v[94:95], s[0:1], v[38:39]
	;; [unrolled: 1-line block ×4, first 2 shown]
	v_add_f64 v[38:39], v[122:123], v[116:117]
	v_fma_f64 v[56:57], v[166:167], s[4:5], v[128:129]
	v_fma_f64 v[94:95], v[150:151], s[8:9], v[136:137]
	v_add_f64 v[104:105], v[112:113], v[138:139]
	v_fma_f64 v[112:113], v[166:167], s[12:13], v[168:169]
	v_add_f64 v[128:129], v[140:141], v[194:195]
	;; [unrolled: 2-line block ×3, first 2 shown]
	v_fma_f64 v[126:127], v[126:127], -0.5, v[192:193]
	v_add_f64 v[138:139], v[106:107], -v[18:19]
	v_add_f64 v[54:55], v[100:101], v[42:43]
	v_fma_f64 v[50:51], v[132:133], s[0:1], v[124:125]
	v_add_f64 v[100:101], v[194:195], -v[186:187]
	v_fma_f64 v[124:125], v[134:135], -0.5, v[192:193]
	v_add_f64 v[134:135], v[106:107], -v[194:195]
	v_add_f64 v[140:141], v[18:19], -v[186:187]
	v_fma_f64 v[12:13], v[158:159], s[12:13], v[12:13]
	v_fma_f64 v[166:167], v[162:163], s[12:13], v[34:35]
	v_add_f64 v[106:107], v[194:195], -v[106:107]
	v_add_f64 v[168:169], v[186:187], -v[18:19]
	v_fma_f64 v[170:171], v[162:163], s[6:7], v[34:35]
	v_add_f64 v[172:173], v[44:45], v[120:121]
	v_fma_f64 v[38:39], v[38:39], -0.5, v[44:45]
	v_add_f64 v[178:179], v[110:111], -v[142:143]
	v_fma_f64 v[34:35], v[132:133], s[0:1], v[56:57]
	v_fma_f64 v[42:43], v[104:105], s[0:1], v[94:95]
	;; [unrolled: 1-line block ×3, first 2 shown]
	v_add_f64 v[94:95], v[128:129], v[186:187]
	v_fma_f64 v[112:113], v[162:163], s[4:5], v[130:131]
	v_add_f64 v[128:129], v[120:121], v[118:119]
	v_add_f64 v[130:131], v[136:137], v[196:197]
	v_fma_f64 v[132:133], v[138:139], s[12:13], v[126:127]
	v_add_f64 v[136:137], v[176:177], -v[196:197]
	v_add_f64 v[150:151], v[58:59], -v[188:189]
	v_fma_f64 v[126:127], v[138:139], s[6:7], v[126:127]
	v_fma_f64 v[180:181], v[100:101], s[6:7], v[124:125]
	v_add_f64 v[176:177], v[196:197], -v[176:177]
	v_add_f64 v[182:183], v[188:189], -v[58:59]
	v_fma_f64 v[124:125], v[100:101], s[12:13], v[124:125]
	v_add_f64 v[134:135], v[134:135], v[140:141]
	v_fma_f64 v[12:13], v[162:163], s[8:9], v[12:13]
	v_fma_f64 v[140:141], v[158:159], s[4:5], v[166:167]
	v_add_f64 v[106:107], v[106:107], v[168:169]
	v_fma_f64 v[158:159], v[158:159], s[8:9], v[170:171]
	v_add_f64 v[162:163], v[172:173], v[122:123]
	v_fma_f64 v[166:167], v[178:179], s[6:7], v[38:39]
	v_add_f64 v[168:169], v[174:175], -v[114:115]
	v_add_f64 v[170:171], v[120:121], -v[122:123]
	;; [unrolled: 1-line block ×3, first 2 shown]
	v_fma_f64 v[186:187], v[178:179], s[12:13], v[38:39]
	v_fma_f64 v[38:39], v[104:105], s[0:1], v[56:57]
	v_fma_f64 v[104:105], v[128:129], -0.5, v[44:45]
	v_add_f64 v[190:191], v[174:175], v[114:115]
	v_add_f64 v[130:131], v[130:131], v[188:189]
	v_fma_f64 v[188:189], v[100:101], s[8:9], v[132:133]
	v_add_f64 v[136:137], v[136:137], v[150:151]
	v_fma_f64 v[100:101], v[100:101], s[4:5], v[126:127]
	;; [unrolled: 2-line block ×5, first 2 shown]
	v_add_f64 v[12:13], v[46:47], v[110:111]
	v_add_f64 v[18:19], v[160:161], v[152:153]
	v_fma_f64 v[128:129], v[134:135], s[0:1], v[112:113]
	v_fma_f64 v[132:133], v[106:107], s[0:1], v[140:141]
	;; [unrolled: 1-line block ×3, first 2 shown]
	v_add_f64 v[94:95], v[162:163], v[116:117]
	v_fma_f64 v[106:107], v[168:169], s[4:5], v[166:167]
	v_add_f64 v[112:113], v[170:171], v[172:173]
	v_fma_f64 v[140:141], v[168:169], s[8:9], v[186:187]
	;; [unrolled: 2-line block ×3, first 2 shown]
	v_fma_f64 v[166:167], v[190:191], -0.5, v[46:47]
	v_add_f64 v[170:171], v[120:121], -v[118:119]
	v_add_f64 v[126:127], v[130:131], v[58:59]
	v_fma_f64 v[130:131], v[136:137], s[0:1], v[188:189]
	v_add_f64 v[172:173], v[122:123], -v[116:117]
	v_fma_f64 v[150:151], v[150:151], -0.5, v[46:47]
	v_fma_f64 v[46:47], v[136:137], s[0:1], v[100:101]
	v_add_f64 v[100:101], v[122:123], -v[120:121]
	v_fma_f64 v[58:59], v[176:177], s[0:1], v[138:139]
	v_add_f64 v[122:123], v[164:165], v[98:99]
	v_add_f64 v[136:137], v[116:117], -v[118:119]
	v_fma_f64 v[104:105], v[168:169], s[6:7], v[104:105]
	v_add_f64 v[12:13], v[12:13], v[174:175]
	v_add_f64 v[138:139], v[8:9], v[108:109]
	v_fma_f64 v[18:19], v[18:19], -0.5, v[8:9]
	v_add_f64 v[168:169], v[92:93], -v[96:97]
	v_fma_f64 v[134:135], v[176:177], s[0:1], v[180:181]
	v_add_f64 v[116:117], v[94:95], v[118:119]
	v_fma_f64 v[120:121], v[112:113], s[0:1], v[106:107]
	v_add_f64 v[94:95], v[164:165], -v[98:99]
	v_fma_f64 v[106:107], v[158:159], -0.5, v[8:9]
	v_fma_f64 v[8:9], v[112:113], s[0:1], v[140:141]
	v_fma_f64 v[112:113], v[178:179], s[4:5], v[162:163]
	;; [unrolled: 1-line block ×3, first 2 shown]
	v_add_f64 v[140:141], v[110:111], -v[174:175]
	v_add_f64 v[158:159], v[142:143], -v[114:115]
	v_fma_f64 v[162:163], v[170:171], s[6:7], v[166:167]
	v_fma_f64 v[166:167], v[172:173], s[6:7], v[150:151]
	v_add_f64 v[110:111], v[174:175], -v[110:111]
	v_add_f64 v[174:175], v[114:115], -v[142:143]
	v_fma_f64 v[150:151], v[172:173], s[12:13], v[150:151]
	v_add_f64 v[176:177], v[10:11], v[92:93]
	v_fma_f64 v[122:123], v[122:123], -0.5, v[10:11]
	v_add_f64 v[180:181], v[108:109], -v[102:103]
	v_add_f64 v[100:101], v[100:101], v[136:137]
	v_fma_f64 v[136:137], v[178:179], s[8:9], v[104:105]
	v_add_f64 v[12:13], v[12:13], v[114:115]
	v_add_f64 v[104:105], v[138:139], v[160:161]
	v_fma_f64 v[114:115], v[168:169], s[6:7], v[18:19]
	v_add_f64 v[138:139], v[108:109], -v[160:161]
	v_add_f64 v[178:179], v[102:103], -v[152:153]
	v_fma_f64 v[18:19], v[168:169], s[12:13], v[18:19]
	v_add_f64 v[186:187], v[92:93], v[96:97]
	v_fma_f64 v[182:183], v[94:95], s[12:13], v[106:107]
	v_add_f64 v[108:109], v[160:161], -v[108:109]
	v_add_f64 v[188:189], v[152:153], -v[102:103]
	v_fma_f64 v[190:191], v[172:173], s[8:9], v[118:119]
	v_add_f64 v[140:141], v[140:141], v[158:159]
	v_fma_f64 v[158:159], v[172:173], s[4:5], v[162:163]
	v_fma_f64 v[106:107], v[94:95], s[6:7], v[106:107]
	;; [unrolled: 1-line block ×3, first 2 shown]
	v_add_f64 v[166:167], v[78:79], v[82:83]
	v_add_f64 v[110:111], v[110:111], v[174:175]
	v_fma_f64 v[150:151], v[170:171], s[4:5], v[150:151]
	v_add_f64 v[170:171], v[176:177], v[164:165]
	v_add_f64 v[160:161], v[160:161], -v[152:153]
	v_add_f64 v[174:175], v[92:93], -v[164:165]
	;; [unrolled: 1-line block ×3, first 2 shown]
	v_fma_f64 v[172:173], v[180:181], s[12:13], v[122:123]
	v_add_f64 v[152:153], v[104:105], v[152:153]
	v_fma_f64 v[114:115], v[94:95], s[4:5], v[114:115]
	v_add_f64 v[192:193], v[88:89], v[62:63]
	v_add_f64 v[138:139], v[138:139], v[178:179]
	v_fma_f64 v[18:19], v[94:95], s[8:9], v[18:19]
	v_fma_f64 v[94:95], v[180:181], s[6:7], v[122:123]
	v_fma_f64 v[178:179], v[186:187], -0.5, v[10:11]
	v_fma_f64 v[182:183], v[168:169], s[4:5], v[182:183]
	v_add_f64 v[186:187], v[108:109], v[188:189]
	v_fma_f64 v[104:105], v[100:101], s[0:1], v[112:113]
	v_fma_f64 v[108:109], v[100:101], s[0:1], v[136:137]
	v_add_f64 v[118:119], v[12:13], v[142:143]
	v_fma_f64 v[12:13], v[168:169], s[8:9], v[106:107]
	v_add_f64 v[142:143], v[4:5], v[88:89]
	v_fma_f64 v[166:167], v[166:167], -0.5, v[4:5]
	v_add_f64 v[168:169], v[70:71], -v[60:61]
	v_fma_f64 v[122:123], v[140:141], s[0:1], v[190:191]
	v_fma_f64 v[10:11], v[140:141], s[0:1], v[158:159]
	v_fma_f64 v[106:107], v[110:111], s[0:1], v[162:163]
	v_add_f64 v[140:141], v[170:171], v[98:99]
	v_add_f64 v[162:163], v[174:175], v[176:177]
	v_fma_f64 v[110:111], v[110:111], s[0:1], v[150:151]
	v_add_f64 v[100:101], v[152:153], v[102:103]
	v_add_f64 v[152:153], v[164:165], -v[92:93]
	v_add_f64 v[98:99], v[98:99], -v[96:97]
	v_fma_f64 v[158:159], v[160:161], s[8:9], v[172:173]
	v_add_f64 v[170:171], v[72:73], -v[64:65]
	v_fma_f64 v[94:95], v[160:161], s[4:5], v[94:95]
	v_fma_f64 v[150:151], v[160:161], s[6:7], v[178:179]
	v_fma_f64 v[172:173], v[192:193], -0.5, v[4:5]
	v_fma_f64 v[112:113], v[138:139], s[0:1], v[114:115]
	v_fma_f64 v[136:137], v[138:139], s[0:1], v[18:19]
	;; [unrolled: 1-line block ×3, first 2 shown]
	v_add_f64 v[18:19], v[72:73], v[64:65]
	v_fma_f64 v[92:93], v[186:187], s[0:1], v[12:13]
	v_fma_f64 v[12:13], v[160:161], s[12:13], v[178:179]
	v_add_f64 v[142:143], v[142:143], v[78:79]
	v_fma_f64 v[160:161], v[168:169], s[6:7], v[166:167]
	v_add_f64 v[164:165], v[70:71], v[60:61]
	v_add_f64 v[174:175], v[88:89], -v[78:79]
	v_add_f64 v[176:177], v[62:63], -v[82:83]
	v_add_f64 v[102:103], v[140:141], v[96:97]
	v_add_f64 v[96:97], v[84:85], v[80:81]
	v_fma_f64 v[140:141], v[168:169], s[12:13], v[166:167]
	v_add_f64 v[166:167], v[78:79], -v[88:89]
	v_add_f64 v[178:179], v[68:69], v[74:75]
	v_add_f64 v[182:183], v[82:83], -v[62:63]
	v_add_f64 v[98:99], v[152:153], v[98:99]
	v_add_f64 v[152:153], v[66:67], v[90:91]
	v_fma_f64 v[138:139], v[162:163], s[0:1], v[94:95]
	v_fma_f64 v[94:95], v[180:181], s[8:9], v[150:151]
	v_add_f64 v[150:151], v[86:87], v[76:77]
	v_fma_f64 v[114:115], v[162:163], s[0:1], v[158:159]
	v_fma_f64 v[158:159], v[170:171], s[12:13], v[172:173]
	v_add_f64 v[162:163], v[6:7], v[70:71]
	v_fma_f64 v[18:19], v[18:19], -0.5, v[6:7]
	v_add_f64 v[88:89], v[88:89], -v[62:63]
	v_add_f64 v[78:79], v[78:79], -v[82:83]
	v_add_f64 v[142:143], v[142:143], v[82:83]
	v_fma_f64 v[82:83], v[170:171], s[4:5], v[160:161]
	v_fma_f64 v[6:7], v[164:165], -0.5, v[6:7]
	v_add_f64 v[164:165], v[0:1], v[68:69]
	v_add_f64 v[160:161], v[174:175], v[176:177]
	v_add_f64 v[174:175], v[66:67], -v[90:91]
	v_fma_f64 v[96:97], v[96:97], -0.5, v[0:1]
	v_fma_f64 v[140:141], v[170:171], s[8:9], v[140:141]
	v_add_f64 v[176:177], v[86:87], -v[76:77]
	v_fma_f64 v[0:1], v[178:179], -0.5, v[0:1]
	v_add_f64 v[166:167], v[166:167], v[182:183]
	v_fma_f64 v[170:171], v[170:171], s[6:7], v[172:173]
	v_add_f64 v[172:173], v[2:3], v[66:67]
	v_add_f64 v[178:179], v[68:69], -v[74:75]
	v_add_f64 v[182:183], v[84:85], -v[80:81]
	v_fma_f64 v[150:151], v[150:151], -0.5, v[2:3]
	v_fma_f64 v[2:3], v[152:153], -0.5, v[2:3]
	v_fma_f64 v[12:13], v[180:181], s[4:5], v[12:13]
	v_add_f64 v[162:163], v[162:163], v[72:73]
	v_add_f64 v[152:153], v[70:71], -v[72:73]
	v_fma_f64 v[180:181], v[88:89], s[12:13], v[18:19]
	v_add_f64 v[186:187], v[60:61], -v[64:65]
	v_fma_f64 v[18:19], v[88:89], s[6:7], v[18:19]
	;; [unrolled: 2-line block ×4, first 2 shown]
	v_add_f64 v[164:165], v[164:165], v[84:85]
	v_fma_f64 v[190:191], v[174:175], s[6:7], v[96:97]
	v_add_f64 v[192:193], v[68:69], -v[84:85]
	v_add_f64 v[194:195], v[74:75], -v[80:81]
	v_fma_f64 v[96:97], v[174:175], s[12:13], v[96:97]
	v_fma_f64 v[196:197], v[176:177], s[12:13], v[0:1]
	v_add_f64 v[68:69], v[84:85], -v[68:69]
	v_add_f64 v[84:85], v[80:81], -v[74:75]
	v_fma_f64 v[0:1], v[176:177], s[6:7], v[0:1]
	v_add_f64 v[172:173], v[172:173], v[86:87]
	v_fma_f64 v[198:199], v[178:179], s[12:13], v[150:151]
	v_add_f64 v[200:201], v[66:67], -v[86:87]
	v_add_f64 v[202:203], v[90:91], -v[76:77]
	v_fma_f64 v[150:151], v[178:179], s[6:7], v[150:151]
	v_fma_f64 v[204:205], v[182:183], s[6:7], v[2:3]
	v_add_f64 v[66:67], v[86:87], -v[66:67]
	v_add_f64 v[86:87], v[76:77], -v[90:91]
	v_fma_f64 v[2:3], v[182:183], s[12:13], v[2:3]
	v_fma_f64 v[158:159], v[168:169], s[4:5], v[158:159]
	;; [unrolled: 1-line block ×3, first 2 shown]
	v_add_f64 v[64:65], v[162:163], v[64:65]
	v_fma_f64 v[162:163], v[78:79], s[8:9], v[180:181]
	v_add_f64 v[152:153], v[152:153], v[186:187]
	v_fma_f64 v[18:19], v[78:79], s[4:5], v[18:19]
	v_fma_f64 v[78:79], v[88:89], s[8:9], v[188:189]
	v_add_f64 v[170:171], v[70:71], v[72:73]
	v_fma_f64 v[88:89], v[88:89], s[4:5], v[6:7]
	v_add_f64 v[80:81], v[164:165], v[80:81]
	v_fma_f64 v[164:165], v[176:177], s[4:5], v[190:191]
	v_add_f64 v[180:181], v[192:193], v[194:195]
	v_fma_f64 v[96:97], v[176:177], s[8:9], v[96:97]
	v_fma_f64 v[176:177], v[174:175], s[4:5], v[196:197]
	v_add_f64 v[186:187], v[68:69], v[84:85]
	v_fma_f64 v[174:175], v[174:175], s[8:9], v[0:1]
	;; [unrolled: 7-line block ×3, first 2 shown]
	v_fma_f64 v[6:7], v[98:99], s[0:1], v[94:95]
	v_fma_f64 v[94:95], v[98:99], s[0:1], v[12:13]
	v_add_f64 v[0:1], v[142:143], v[62:63]
	v_fma_f64 v[62:63], v[160:161], s[0:1], v[82:83]
	v_fma_f64 v[66:67], v[160:161], s[0:1], v[140:141]
	v_fma_f64 v[70:71], v[166:167], s[0:1], v[158:159]
	v_fma_f64 v[76:77], v[166:167], s[0:1], v[168:169]
	v_add_f64 v[2:3], v[64:65], v[60:61]
	v_fma_f64 v[64:65], v[152:153], s[0:1], v[162:163]
	v_fma_f64 v[68:69], v[152:153], s[0:1], v[18:19]
	;; [unrolled: 5-line block ×4, first 2 shown]
	v_fma_f64 v[98:99], v[192:193], s[0:1], v[182:183]
	v_fma_f64 v[142:143], v[192:193], s[0:1], v[178:179]
	s_barrier
	buffer_gl0_inv
	ds_write_b128 v185, v[28:31]
	ds_write_b128 v185, v[20:23] offset:6272
	ds_write_b128 v185, v[14:17] offset:12544
	;; [unrolled: 1-line block ×34, first 2 shown]
	s_waitcnt lgkmcnt(0)
	s_barrier
	buffer_gl0_inv
	s_and_saveexec_b32 s0, vcc_lo
	s_cbranch_execz .LBB0_29
; %bb.28:
	v_mul_lo_u32 v2, s3, v148
	v_mul_lo_u32 v3, s2, v149
	v_mad_u64_u32 v[0:1], null, s2, v148, 0
	v_lshl_add_u32 v28, v144, 4, 0
	v_mov_b32_e32 v145, 0
	v_lshlrev_b64 v[8:9], 4, v[146:147]
	v_add_nc_u32_e32 v12, 56, v144
	v_add_nc_u32_e32 v22, 0x118, v144
	;; [unrolled: 1-line block ×3, first 2 shown]
	v_add3_u32 v1, v1, v3, v2
	v_mov_b32_e32 v13, v145
	v_lshlrev_b64 v[14:15], 4, v[144:145]
	v_mov_b32_e32 v23, v145
	v_mov_b32_e32 v25, v145
	v_lshlrev_b64 v[10:11], 4, v[0:1]
	ds_read_b128 v[0:3], v28
	ds_read_b128 v[4:7], v28 offset:896
	v_lshlrev_b64 v[22:23], 4, v[22:23]
	v_add_co_u32 v10, vcc_lo, s10, v10
	v_add_co_ci_u32_e32 v11, vcc_lo, s11, v11, vcc_lo
	v_add_co_u32 v30, vcc_lo, v10, v8
	v_add_co_ci_u32_e32 v31, vcc_lo, v11, v9, vcc_lo
	v_lshlrev_b64 v[8:9], 4, v[12:13]
	v_add_co_u32 v10, vcc_lo, v30, v14
	v_add_co_ci_u32_e32 v11, vcc_lo, v31, v15, vcc_lo
	v_add_nc_u32_e32 v12, 0x70, v144
	v_add_co_u32 v8, vcc_lo, v30, v8
	v_add_co_ci_u32_e32 v9, vcc_lo, v31, v9, vcc_lo
	s_waitcnt lgkmcnt(1)
	global_store_dwordx4 v[10:11], v[0:3], off
	s_waitcnt lgkmcnt(0)
	global_store_dwordx4 v[8:9], v[4:7], off
	v_lshlrev_b64 v[0:1], 4, v[12:13]
	v_add_nc_u32_e32 v8, 0xa8, v144
	v_mov_b32_e32 v9, v145
	v_add_nc_u32_e32 v10, 0xe0, v144
	v_mov_b32_e32 v11, v145
	v_add_co_u32 v16, vcc_lo, v30, v0
	v_add_co_ci_u32_e32 v17, vcc_lo, v31, v1, vcc_lo
	ds_read_b128 v[0:3], v28 offset:1792
	ds_read_b128 v[4:7], v28 offset:2688
	v_lshlrev_b64 v[18:19], 4, v[8:9]
	v_lshlrev_b64 v[20:21], 4, v[10:11]
	ds_read_b128 v[8:11], v28 offset:3584
	ds_read_b128 v[12:15], v28 offset:4480
	v_add_co_u32 v18, vcc_lo, v30, v18
	v_add_co_ci_u32_e32 v19, vcc_lo, v31, v19, vcc_lo
	v_add_co_u32 v20, vcc_lo, v30, v20
	v_add_co_ci_u32_e32 v21, vcc_lo, v31, v21, vcc_lo
	;; [unrolled: 2-line block ×3, first 2 shown]
	s_waitcnt lgkmcnt(3)
	global_store_dwordx4 v[16:17], v[0:3], off
	s_waitcnt lgkmcnt(2)
	global_store_dwordx4 v[18:19], v[4:7], off
	s_waitcnt lgkmcnt(1)
	global_store_dwordx4 v[20:21], v[8:11], off
	s_waitcnt lgkmcnt(0)
	global_store_dwordx4 v[22:23], v[12:15], off
	v_lshlrev_b64 v[0:1], 4, v[24:25]
	v_add_nc_u32_e32 v8, 0x188, v144
	v_mov_b32_e32 v9, v145
	v_add_nc_u32_e32 v10, 0x1c0, v144
	v_mov_b32_e32 v11, v145
	v_add_nc_u32_e32 v22, 0x1f8, v144
	v_add_co_u32 v16, vcc_lo, v30, v0
	v_add_co_ci_u32_e32 v17, vcc_lo, v31, v1, vcc_lo
	ds_read_b128 v[0:3], v28 offset:5376
	ds_read_b128 v[4:7], v28 offset:6272
	v_lshlrev_b64 v[18:19], 4, v[8:9]
	v_lshlrev_b64 v[20:21], 4, v[10:11]
	ds_read_b128 v[8:11], v28 offset:7168
	ds_read_b128 v[12:15], v28 offset:8064
	v_mov_b32_e32 v23, v145
	v_add_nc_u32_e32 v24, 0x230, v144
	v_add_co_u32 v18, vcc_lo, v30, v18
	v_lshlrev_b64 v[22:23], 4, v[22:23]
	v_add_co_ci_u32_e32 v19, vcc_lo, v31, v19, vcc_lo
	v_add_co_u32 v20, vcc_lo, v30, v20
	v_add_co_ci_u32_e32 v21, vcc_lo, v31, v21, vcc_lo
	v_add_co_u32 v22, vcc_lo, v30, v22
	v_add_co_ci_u32_e32 v23, vcc_lo, v31, v23, vcc_lo
	s_waitcnt lgkmcnt(3)
	global_store_dwordx4 v[16:17], v[0:3], off
	s_waitcnt lgkmcnt(2)
	global_store_dwordx4 v[18:19], v[4:7], off
	s_waitcnt lgkmcnt(1)
	global_store_dwordx4 v[20:21], v[8:11], off
	s_waitcnt lgkmcnt(0)
	global_store_dwordx4 v[22:23], v[12:15], off
	v_lshlrev_b64 v[0:1], 4, v[24:25]
	v_add_nc_u32_e32 v8, 0x268, v144
	v_mov_b32_e32 v9, v145
	v_add_nc_u32_e32 v10, 0x2a0, v144
	v_mov_b32_e32 v11, v145
	v_add_nc_u32_e32 v22, 0x2d8, v144
	v_add_co_u32 v16, vcc_lo, v30, v0
	v_add_co_ci_u32_e32 v17, vcc_lo, v31, v1, vcc_lo
	ds_read_b128 v[0:3], v28 offset:8960
	ds_read_b128 v[4:7], v28 offset:9856
	v_lshlrev_b64 v[18:19], 4, v[8:9]
	v_lshlrev_b64 v[20:21], 4, v[10:11]
	ds_read_b128 v[8:11], v28 offset:10752
	ds_read_b128 v[12:15], v28 offset:11648
	v_mov_b32_e32 v23, v145
	v_add_nc_u32_e32 v24, 0x310, v144
	v_add_co_u32 v18, vcc_lo, v30, v18
	v_lshlrev_b64 v[22:23], 4, v[22:23]
	v_add_co_ci_u32_e32 v19, vcc_lo, v31, v19, vcc_lo
	v_add_co_u32 v20, vcc_lo, v30, v20
	v_add_co_ci_u32_e32 v21, vcc_lo, v31, v21, vcc_lo
	v_add_co_u32 v22, vcc_lo, v30, v22
	v_add_co_ci_u32_e32 v23, vcc_lo, v31, v23, vcc_lo
	;; [unrolled: 31-line block ×5, first 2 shown]
	s_waitcnt lgkmcnt(3)
	global_store_dwordx4 v[16:17], v[0:3], off
	s_waitcnt lgkmcnt(2)
	global_store_dwordx4 v[18:19], v[4:7], off
	s_waitcnt lgkmcnt(1)
	global_store_dwordx4 v[20:21], v[8:11], off
	s_waitcnt lgkmcnt(0)
	global_store_dwordx4 v[22:23], v[12:15], off
	v_lshlrev_b64 v[0:1], 4, v[24:25]
	v_add_nc_u32_e32 v8, 0x5e8, v144
	v_mov_b32_e32 v9, v145
	v_add_nc_u32_e32 v10, 0x620, v144
	v_mov_b32_e32 v11, v145
	v_add_nc_u32_e32 v22, 0x658, v144
	v_add_co_u32 v16, vcc_lo, v30, v0
	v_add_co_ci_u32_e32 v17, vcc_lo, v31, v1, vcc_lo
	ds_read_b128 v[0:3], v28 offset:23296
	ds_read_b128 v[4:7], v28 offset:24192
	v_lshlrev_b64 v[18:19], 4, v[8:9]
	v_lshlrev_b64 v[20:21], 4, v[10:11]
	ds_read_b128 v[8:11], v28 offset:25088
	ds_read_b128 v[12:15], v28 offset:25984
	v_mov_b32_e32 v23, v145
	v_add_nc_u32_e32 v24, 0x690, v144
	v_add_co_u32 v18, vcc_lo, v30, v18
	v_lshlrev_b64 v[22:23], 4, v[22:23]
	v_add_co_ci_u32_e32 v19, vcc_lo, v31, v19, vcc_lo
	v_add_co_u32 v20, vcc_lo, v30, v20
	v_add_co_ci_u32_e32 v21, vcc_lo, v31, v21, vcc_lo
	v_add_co_u32 v22, vcc_lo, v30, v22
	s_waitcnt lgkmcnt(3)
	global_store_dwordx4 v[16:17], v[0:3], off
	s_waitcnt lgkmcnt(2)
	global_store_dwordx4 v[18:19], v[4:7], off
	v_add_nc_u32_e32 v2, 0x6c8, v144
	v_mov_b32_e32 v3, v145
	v_add_co_ci_u32_e32 v23, vcc_lo, v31, v23, vcc_lo
	v_lshlrev_b64 v[0:1], 4, v[24:25]
	s_waitcnt lgkmcnt(1)
	global_store_dwordx4 v[20:21], v[8:11], off
	s_waitcnt lgkmcnt(0)
	global_store_dwordx4 v[22:23], v[12:15], off
	v_lshlrev_b64 v[8:9], 4, v[2:3]
	v_add_nc_u32_e32 v10, 0x700, v144
	v_mov_b32_e32 v11, v145
	v_add_co_u32 v20, vcc_lo, v30, v0
	v_add_co_ci_u32_e32 v21, vcc_lo, v31, v1, vcc_lo
	v_add_co_u32 v22, vcc_lo, v30, v8
	ds_read_b128 v[0:3], v28 offset:26880
	ds_read_b128 v[4:7], v28 offset:27776
	v_add_co_ci_u32_e32 v23, vcc_lo, v31, v9, vcc_lo
	v_lshlrev_b64 v[26:27], 4, v[10:11]
	ds_read_b128 v[8:11], v28 offset:28672
	ds_read_b128 v[12:15], v28 offset:29568
	ds_read_b128 v[16:19], v28 offset:30464
	v_add_nc_u32_e32 v24, 0x738, v144
	v_add_nc_u32_e32 v144, 0x770, v144
	v_add_co_u32 v26, vcc_lo, v30, v26
	v_lshlrev_b64 v[24:25], 4, v[24:25]
	v_lshlrev_b64 v[28:29], 4, v[144:145]
	v_add_co_ci_u32_e32 v27, vcc_lo, v31, v27, vcc_lo
	v_add_co_u32 v24, vcc_lo, v30, v24
	v_add_co_ci_u32_e32 v25, vcc_lo, v31, v25, vcc_lo
	v_add_co_u32 v28, vcc_lo, v30, v28
	v_add_co_ci_u32_e32 v29, vcc_lo, v31, v29, vcc_lo
	s_waitcnt lgkmcnt(4)
	global_store_dwordx4 v[20:21], v[0:3], off
	s_waitcnt lgkmcnt(3)
	global_store_dwordx4 v[22:23], v[4:7], off
	;; [unrolled: 2-line block ×5, first 2 shown]
.LBB0_29:
	s_endpgm
	.section	.rodata,"a",@progbits
	.p2align	6, 0x0
	.amdhsa_kernel fft_rtc_back_len1960_factors_4_7_2_7_5_wgs_56_tpt_56_halfLds_dp_op_CI_CI_unitstride_sbrr_C2R_dirReg
		.amdhsa_group_segment_fixed_size 0
		.amdhsa_private_segment_fixed_size 0
		.amdhsa_kernarg_size 104
		.amdhsa_user_sgpr_count 6
		.amdhsa_user_sgpr_private_segment_buffer 1
		.amdhsa_user_sgpr_dispatch_ptr 0
		.amdhsa_user_sgpr_queue_ptr 0
		.amdhsa_user_sgpr_kernarg_segment_ptr 1
		.amdhsa_user_sgpr_dispatch_id 0
		.amdhsa_user_sgpr_flat_scratch_init 0
		.amdhsa_user_sgpr_private_segment_size 0
		.amdhsa_wavefront_size32 1
		.amdhsa_uses_dynamic_stack 0
		.amdhsa_system_sgpr_private_segment_wavefront_offset 0
		.amdhsa_system_sgpr_workgroup_id_x 1
		.amdhsa_system_sgpr_workgroup_id_y 0
		.amdhsa_system_sgpr_workgroup_id_z 0
		.amdhsa_system_sgpr_workgroup_info 0
		.amdhsa_system_vgpr_workitem_id 0
		.amdhsa_next_free_vgpr 256
		.amdhsa_next_free_sgpr 28
		.amdhsa_reserve_vcc 1
		.amdhsa_reserve_flat_scratch 0
		.amdhsa_float_round_mode_32 0
		.amdhsa_float_round_mode_16_64 0
		.amdhsa_float_denorm_mode_32 3
		.amdhsa_float_denorm_mode_16_64 3
		.amdhsa_dx10_clamp 1
		.amdhsa_ieee_mode 1
		.amdhsa_fp16_overflow 0
		.amdhsa_workgroup_processor_mode 1
		.amdhsa_memory_ordered 1
		.amdhsa_forward_progress 0
		.amdhsa_shared_vgpr_count 0
		.amdhsa_exception_fp_ieee_invalid_op 0
		.amdhsa_exception_fp_denorm_src 0
		.amdhsa_exception_fp_ieee_div_zero 0
		.amdhsa_exception_fp_ieee_overflow 0
		.amdhsa_exception_fp_ieee_underflow 0
		.amdhsa_exception_fp_ieee_inexact 0
		.amdhsa_exception_int_div_zero 0
	.end_amdhsa_kernel
	.text
.Lfunc_end0:
	.size	fft_rtc_back_len1960_factors_4_7_2_7_5_wgs_56_tpt_56_halfLds_dp_op_CI_CI_unitstride_sbrr_C2R_dirReg, .Lfunc_end0-fft_rtc_back_len1960_factors_4_7_2_7_5_wgs_56_tpt_56_halfLds_dp_op_CI_CI_unitstride_sbrr_C2R_dirReg
                                        ; -- End function
	.section	.AMDGPU.csdata,"",@progbits
; Kernel info:
; codeLenInByte = 28604
; NumSgprs: 30
; NumVgprs: 256
; ScratchSize: 0
; MemoryBound: 0
; FloatMode: 240
; IeeeMode: 1
; LDSByteSize: 0 bytes/workgroup (compile time only)
; SGPRBlocks: 3
; VGPRBlocks: 31
; NumSGPRsForWavesPerEU: 30
; NumVGPRsForWavesPerEU: 256
; Occupancy: 4
; WaveLimiterHint : 1
; COMPUTE_PGM_RSRC2:SCRATCH_EN: 0
; COMPUTE_PGM_RSRC2:USER_SGPR: 6
; COMPUTE_PGM_RSRC2:TRAP_HANDLER: 0
; COMPUTE_PGM_RSRC2:TGID_X_EN: 1
; COMPUTE_PGM_RSRC2:TGID_Y_EN: 0
; COMPUTE_PGM_RSRC2:TGID_Z_EN: 0
; COMPUTE_PGM_RSRC2:TIDIG_COMP_CNT: 0
	.text
	.p2alignl 6, 3214868480
	.fill 48, 4, 3214868480
	.type	__hip_cuid_63c7d413ceaebdde,@object ; @__hip_cuid_63c7d413ceaebdde
	.section	.bss,"aw",@nobits
	.globl	__hip_cuid_63c7d413ceaebdde
__hip_cuid_63c7d413ceaebdde:
	.byte	0                               ; 0x0
	.size	__hip_cuid_63c7d413ceaebdde, 1

	.ident	"AMD clang version 19.0.0git (https://github.com/RadeonOpenCompute/llvm-project roc-6.4.0 25133 c7fe45cf4b819c5991fe208aaa96edf142730f1d)"
	.section	".note.GNU-stack","",@progbits
	.addrsig
	.addrsig_sym __hip_cuid_63c7d413ceaebdde
	.amdgpu_metadata
---
amdhsa.kernels:
  - .args:
      - .actual_access:  read_only
        .address_space:  global
        .offset:         0
        .size:           8
        .value_kind:     global_buffer
      - .offset:         8
        .size:           8
        .value_kind:     by_value
      - .actual_access:  read_only
        .address_space:  global
        .offset:         16
        .size:           8
        .value_kind:     global_buffer
      - .actual_access:  read_only
        .address_space:  global
        .offset:         24
        .size:           8
        .value_kind:     global_buffer
      - .actual_access:  read_only
        .address_space:  global
        .offset:         32
        .size:           8
        .value_kind:     global_buffer
      - .offset:         40
        .size:           8
        .value_kind:     by_value
      - .actual_access:  read_only
        .address_space:  global
        .offset:         48
        .size:           8
        .value_kind:     global_buffer
      - .actual_access:  read_only
        .address_space:  global
        .offset:         56
        .size:           8
        .value_kind:     global_buffer
      - .offset:         64
        .size:           4
        .value_kind:     by_value
      - .actual_access:  read_only
        .address_space:  global
        .offset:         72
        .size:           8
        .value_kind:     global_buffer
      - .actual_access:  read_only
        .address_space:  global
        .offset:         80
        .size:           8
        .value_kind:     global_buffer
      - .actual_access:  read_only
        .address_space:  global
        .offset:         88
        .size:           8
        .value_kind:     global_buffer
      - .actual_access:  write_only
        .address_space:  global
        .offset:         96
        .size:           8
        .value_kind:     global_buffer
    .group_segment_fixed_size: 0
    .kernarg_segment_align: 8
    .kernarg_segment_size: 104
    .language:       OpenCL C
    .language_version:
      - 2
      - 0
    .max_flat_workgroup_size: 56
    .name:           fft_rtc_back_len1960_factors_4_7_2_7_5_wgs_56_tpt_56_halfLds_dp_op_CI_CI_unitstride_sbrr_C2R_dirReg
    .private_segment_fixed_size: 0
    .sgpr_count:     30
    .sgpr_spill_count: 0
    .symbol:         fft_rtc_back_len1960_factors_4_7_2_7_5_wgs_56_tpt_56_halfLds_dp_op_CI_CI_unitstride_sbrr_C2R_dirReg.kd
    .uniform_work_group_size: 1
    .uses_dynamic_stack: false
    .vgpr_count:     256
    .vgpr_spill_count: 0
    .wavefront_size: 32
    .workgroup_processor_mode: 1
amdhsa.target:   amdgcn-amd-amdhsa--gfx1030
amdhsa.version:
  - 1
  - 2
...

	.end_amdgpu_metadata
